;; amdgpu-corpus repo=ROCm/aiter kind=harvested arch=n/a opt=n/a

/root/src/amdgpu-assembly/repos/ROCm__aiter/hsa/gfx950/fmoe_2stages/fmoe_stage1_bf16_pertokenFp8_g1u1_16x64_6tg_pf2.co:	file format elf64-amdgpu

Disassembly of section .text:

0000000000002a00 <_ZN5aiter47fmoe_stage1_bf16_pertokenFp8_g1u1_16x64_6tg_pf2E>:
	s_and_b32 s1, s1, 0xffff                                   // 000000002A00: 8601FF01 0000FFFF
	s_load_dwordx2 s[8:9], s[0:1], 0x0                         // 000000002A08: C0060200 00000000
	s_load_dwordx2 s[20:21], s[0:1], 0x10                      // 000000002A10: C0060500 00000010
	s_load_dwordx2 s[24:25], s[0:1], 0x20                      // 000000002A18: C0060600 00000020
	s_load_dwordx2 s[48:49], s[0:1], 0x30                      // 000000002A20: C0060C00 00000030
	s_load_dwordx2 s[28:29], s[0:1], 0x40                      // 000000002A28: C0060700 00000040
	s_load_dwordx2 s[32:33], s[0:1], 0x50                      // 000000002A30: C0060800 00000050
	s_load_dwordx2 s[36:37], s[0:1], 0x60                      // 000000002A38: C0060900 00000060
	s_load_dwordx2 s[12:13], s[0:1], 0x70                      // 000000002A40: C0060300 00000070
	s_load_dwordx2 s[44:45], s[0:1], 0x80                      // 000000002A48: C0060B00 00000080
	s_mov_b32 s89, 0                                           // 000000002A50: BED90080
	s_load_dword s64, s[0:1], 0x90                             // 000000002A54: C0021000 00000090
	s_load_dword s65, s[0:1], 0xa0                             // 000000002A5C: C0021040 000000A0
	s_load_dword s66, s[0:1], 0xb0                             // 000000002A64: C0021080 000000B0
	s_load_dword s67, s[0:1], 0xc0                             // 000000002A6C: C00210C0 000000C0
	s_load_dword s68, s[0:1], 0xd0                             // 000000002A74: C0021100 000000D0
	s_load_dword s69, s[0:1], 0xe0                             // 000000002A7C: C0021140 000000E0
	s_load_dword s71, s[0:1], 0xf0                             // 000000002A84: C00211C0 000000F0
	s_load_dword s72, s[0:1], 0x100                            // 000000002A8C: C0021200 00000100
	s_load_dword s74, s[0:1], 0x110                            // 000000002A94: C0021280 00000110
	s_load_dword s76, s[0:1], 0x120                            // 000000002A9C: C0021300 00000120
	s_load_dword s56, s[0:1], 0x130                            // 000000002AA4: C0020E00 00000130
	s_load_dword s88, s[0:1], 0x140                            // 000000002AAC: C0021600 00000140
	s_load_dword s89, s[0:1], 0x150                            // 000000002AB4: C0021640 00000150
	v_lshrrev_b32_e32 v1, 10, v0                               // 000000002ABC: 2002008A
	v_lshrrev_b32_e32 v2, 10, v1                               // 000000002AC0: 2004028A
	v_and_b32_e32 v2, 0x3ff, v2                                // 000000002AC4: 260404FF 000003FF
	v_and_b32_e32 v1, 0x3ff, v1                                // 000000002ACC: 260202FF 000003FF
	v_and_b32_e32 v0, 0x3ff, v0                                // 000000002AD4: 260000FF 000003FF
	v_lshrrev_b32_e32 v3, 6, v0                                // 000000002ADC: 20060086
	v_and_b32_e32 v0, 63, v0                                   // 000000002AE0: 260000BF
	s_mov_b32 s2, s2                                           // 000000002AE4: BE820002
	s_mov_b32 s3, s3                                           // 000000002AE8: BE830003
	s_mov_b32 s4, s4                                           // 000000002AEC: BE840004
	v_readfirstlane_b32 s7, v3                                 // 000000002AF0: 7E0E0503
	s_waitcnt lgkmcnt(0)                                       // 000000002AF4: BF8CC07F
	s_and_b32 s49, s49, 0xffff                                 // 000000002AF8: 8631FF31 0000FFFF
	s_load_dword s48, s[48:49], 0x0                            // 000000002B00: C0020C18 00000000
	s_and_b32 s45, s45, 0xffff                                 // 000000002B08: 862DFF2D 0000FFFF
	s_and_b32 s9, s9, 0xffff                                   // 000000002B10: 8609FF09 0000FFFF
	s_mul_i32 s60, s66, s68                                    // 000000002B18: 923C4442
	s_mul_i32 s61, s66, 4                                      // 000000002B1C: 923D8442
	s_mov_b32 s22, s60                                         // 000000002B20: BE96003C
	s_mov_b32 s26, -16                                         // 000000002B24: BE9A00D0
	s_mov_b32 s30, s61                                         // 000000002B28: BE9E003D
	s_mov_b32 s14, 64                                          // 000000002B2C: BE8E00C0
	s_mov_b32 s38, -16                                         // 000000002B30: BEA600D0
	s_mov_b32 s10, -16                                         // 000000002B34: BE8A00D0
	s_mov_b32 s34, 0x100                                       // 000000002B38: BEA200FF 00000100
	s_mov_b32 s23, 0x20000                                     // 000000002B40: BE9700FF 00020000
	s_mov_b32 s27, 0x20000                                     // 000000002B48: BE9B00FF 00020000
	s_mov_b32 s31, 0x20000                                     // 000000002B50: BE9F00FF 00020000
	s_mov_b32 s35, 0x20000                                     // 000000002B58: BEA300FF 00020000
	s_mov_b32 s15, 0x20000                                     // 000000002B60: BE8F00FF 00020000
	s_mov_b32 s39, 0x20000                                     // 000000002B68: BEA700FF 00020000
	s_mov_b32 s11, 0x20000                                     // 000000002B70: BE8B00FF 00020000
	s_and_b32 s21, s21, 0xffff                                 // 000000002B78: 8615FF15 0000FFFF
	s_and_b32 s25, s25, 0xffff                                 // 000000002B80: 8619FF19 0000FFFF
	s_and_b32 s29, s29, 0xffff                                 // 000000002B88: 861DFF1D 0000FFFF
	s_and_b32 s33, s33, 0xffff                                 // 000000002B90: 8621FF21 0000FFFF
	s_and_b32 s13, s13, 0xffff                                 // 000000002B98: 860DFF0D 0000FFFF
	s_and_b32 s37, s37, 0xffff                                 // 000000002BA0: 8625FF25 0000FFFF
	s_or_b32 s21, s21, 0x40000                                 // 000000002BA8: 8715FF15 00040000
	s_or_b32 s25, s25, 0x40000                                 // 000000002BB0: 8719FF19 00040000
	s_or_b32 s29, s29, 0x40000                                 // 000000002BB8: 871DFF1D 00040000
	s_or_b32 s33, s33, 0x40000                                 // 000000002BC0: 8721FF21 00040000
	s_or_b32 s13, s13, 0x40000                                 // 000000002BC8: 870DFF0D 00040000
	s_or_b32 s37, s37, 0x40000                                 // 000000002BD0: 8725FF25 00040000
	v_accvgpr_write_b32 a31, 0                                 // 000000002BD8: D3D9401F 18000080
	v_mov_b32_e32 v43, 0                                       // 000000002BE0: 7E560280
	s_waitcnt lgkmcnt(0)                                       // 000000002BE4: BF8CC07F
	s_mul_i32 s60, s3, 16                                      // 000000002BE8: 923C9003
	s_cmp_lt_i32 s60, s48                                      // 000000002BEC: BF04303C
	s_cbranch_scc0 label_0644                                  // 000000002BF0: BF8405C4
	s_mov_b32 s80, 0                                           // 000000002BF4: BED00080
	s_lshr_b32 s81, s64, s88                                   // 000000002BF8: 8F515840
	s_mul_i32 s60, s3, 4                                       // 000000002BFC: 923C8403
	s_add_u32 s44, s60, s44                                    // 000000002C00: 802C2C3C
	s_addc_u32 s45, 0, s45                                     // 000000002C04: 822D2D80
	s_load_dword s5, s[44:45], 0x0                             // 000000002C08: C0020156 00000000
	s_mul_i32 s60, s3, 16                                      // 000000002C10: 923C9003
	s_mul_i32 s60, 4, s60                                      // 000000002C14: 923C3C84
	s_add_u32 s12, s60, s12                                    // 000000002C18: 800C0C3C
	s_addc_u32 s13, 0, s13                                     // 000000002C1C: 820D0D80
	v_and_b32_e32 v4, 15, v0                                   // 000000002C20: 2608008F
	v_lshlrev_b32_e32 v4, 2, v4                                // 000000002C24: 24080882
	buffer_load_dword v28, v4, s[12:15], 0 offen               // 000000002C28: E0501000 80031C04
	v_add_u32_e32 v4, 64, v4                                   // 000000002C30: 680808C0
	s_mul_i32 s60, 4, s7                                       // 000000002C34: 923C0784
	v_lshlrev_b32_e32 v4, 4, v0                                // 000000002C38: 24080084
	v_add_u32_e32 v4, s60, v4                                  // 000000002C3C: 6808083C
	buffer_load_dword v3, v4, s[12:15], 0 offen                // 000000002C40: E0501000 80030304
	v_mov_b32_e32 v36, 0                                       // 000000002C48: 7E480280
	v_mov_b32_e32 v40, 0                                       // 000000002C4C: 7E500280
	v_mov_b32_e32 v37, 0                                       // 000000002C50: 7E4A0280
	v_mov_b32_e32 v41, 0                                       // 000000002C54: 7E520280
	v_mov_b32_e32 v38, 0                                       // 000000002C58: 7E4C0280
	v_mov_b32_e32 v42, 0                                       // 000000002C5C: 7E540280
	v_mov_b32_e32 v39, 0                                       // 000000002C60: 7E4E0280
	v_mov_b32_e32 v43, 0                                       // 000000002C64: 7E560280
	s_mul_i32 s60, s2, 0x80                                    // 000000002C68: 923CFF02 00000080
	s_cmp_eq_u32 s88, 0                                        // 000000002C70: BF068058
	s_cselect_b32 s61, 1, 2                                    // 000000002C74: 853D8281
	s_mul_i32 s60, s60, s61                                    // 000000002C78: 923C3D3C
	s_mov_b32 s90, s8                                          // 000000002C7C: BEDA0008
	s_mov_b32 s91, s9                                          // 000000002C80: BEDB0009
	s_add_u32 s8, s60, s8                                      // 000000002C84: 8008083C
	s_addc_u32 s9, 0, s9                                       // 000000002C88: 82090980
	v_lshrrev_b32_e32 v4, 4, v0                                // 000000002C8C: 20080084
	v_mul_lo_u32 v20, 34, v4                                   // 000000002C90: D2850014 000208A2
	v_and_b32_e32 v4, 15, v0                                   // 000000002C98: 2608008F
	v_mul_lo_u32 v5, 2, v4                                     // 000000002C9C: D2850005 00020882
	v_add_u32_e32 v20, v5, v20                                 // 000000002CA4: 68282905
	s_mul_i32 s60, s7, 0x88                                    // 000000002CA8: 923CFF07 00000088
	v_add_u32_e32 v20, s60, v20                                // 000000002CB0: 6828283C
	v_lshlrev_b32_e32 v20, 2, v20                              // 000000002CB4: 24282882
	v_and_b32_e32 v4, 31, v0                                   // 000000002CB8: 2608009F
	v_lshrrev_b32_e32 v4, 1, v4                                // 000000002CBC: 20080881
	v_mul_lo_u32 v21, 34, v4                                   // 000000002CC0: D2850015 000208A2
	v_lshrrev_b32_e32 v4, 5, v0                                // 000000002CC8: 20080085
	v_mul_lo_u32 v4, 8, v4                                     // 000000002CCC: D2850004 00020888
	v_add_u32_e32 v21, v21, v4                                 // 000000002CD4: 682A0915
	v_and_b32_e32 v5, 1, v0                                    // 000000002CD8: 260A0081
	v_add_u32_e32 v21, v5, v21                                 // 000000002CDC: 682A2B05
	s_mul_i32 s60, s7, 2                                       // 000000002CE0: 923C8207
	v_add_u32_e32 v21, s60, v21                                // 000000002CE4: 682A2A3C
	v_lshlrev_b32_e32 v21, 2, v21                              // 000000002CE8: 242A2A82
	s_mul_i32 s60, s7, 0x220                                   // 000000002CEC: 923CFF07 00000220
	s_add_u32 s48, 0, s60                                      // 000000002CF4: 80303C80
	s_add_u32 s49, 0x880, s48                                  // 000000002CF8: 803130FF 00000880
	v_lshrrev_b32_e32 v4, 4, v0                                // 000000002D00: 20080084
	v_lshlrev_b32_e32 v5, 2, v4                                // 000000002D04: 240A0882
	v_and_b32_e32 v4, 15, v0                                   // 000000002D08: 2608008F
	v_lshrrev_b32_e32 v6, 2, v4                                // 000000002D0C: 200C0882
	v_lshlrev_b32_e32 v6, 5, v6                                // 000000002D10: 240C0C85
	v_add_u32_e32 v5, v6, v5                                   // 000000002D14: 680A0B06
	v_and_b32_e32 v4, 3, v0                                    // 000000002D18: 26080083
	v_mul_u32_u24_e32 v6, 0x88, v4                             // 000000002D1C: 100C08FF 00000088
	v_add_u32_e32 v5, v6, v5                                   // 000000002D24: 680A0B06
	v_lshlrev_b32_e32 v2, 2, v5                                // 000000002D28: 24040A82
	s_waitcnt lgkmcnt(0)                                       // 000000002D2C: BF8CC07F
	s_mul_i32 s60, s2, 64                                      // 000000002D30: 923CC002
	s_mul_i32 s60, s60, s69                                    // 000000002D34: 923C453C
	s_mul_i32 s61, s5, s72                                     // 000000002D38: 923D4805
	s_add_u32 s60, s61, s60                                    // 000000002D3C: 803C3C3D
	s_add_u32 s24, s60, s24                                    // 000000002D40: 8018183C
	s_addc_u32 s25, 0, s25                                     // 000000002D44: 82191980
	s_lshr_b32 s60, s64, s88                                   // 000000002D48: 8F3C5840
	s_mul_i32 s60, s4, s60                                     // 000000002D4C: 923C3C04
	s_lshr_b32 s60, s60, 7                                     // 000000002D50: 8F3C873C
	s_mul_i32 s60, s60, 0x800                                  // 000000002D54: 923CFF3C 00000800
	s_add_u32 s24, s60, s24                                    // 000000002D5C: 8018183C
	s_addc_u32 s25, 0, s25                                     // 000000002D60: 82191980
	s_lshr_b32 s60, s69, s88                                   // 000000002D64: 8F3C5845
	s_mul_i32 s60, s4, s60                                     // 000000002D68: 923C3C04
	s_add_u32 s20, s60, s20                                    // 000000002D6C: 8014143C
	s_addc_u32 s21, 0, s21                                     // 000000002D70: 82151580
	s_mul_i32 s60, s7, 16                                      // 000000002D74: 923C9007
	s_mul_i32 s60, s60, s69                                    // 000000002D78: 923C453C
	v_lshlrev_b32_e32 v34, 4, v0                               // 000000002D7C: 24440084
	v_add_u32_e32 v34, s60, v34                                // 000000002D80: 6844443C
	s_mul_i32 s60, 64, s69                                     // 000000002D84: 923C45C0
	s_mov_b32 s84, s24                                         // 000000002D88: BED40018
	s_mov_b32 s85, s25                                         // 000000002D8C: BED50019
	s_mov_b32 s86, s26                                         // 000000002D90: BED6001A
	s_mov_b32 s87, s27                                         // 000000002D94: BED7001B
	s_mul_i32 s60, s69, s65                                    // 000000002D98: 923C4145
	s_add_u32 s84, s60, s84                                    // 000000002D9C: 8054543C
	s_addc_u32 s85, 0, s85                                     // 000000002DA0: 82555580
	v_lshrrev_b32_e32 v4, 4, v0                                // 000000002DA4: 20080084
	v_lshlrev_b32_e32 v5, 2, v4                                // 000000002DA8: 240A0882
	v_and_b32_e32 v4, 15, v0                                   // 000000002DAC: 2608008F
	v_lshrrev_b32_e32 v6, 2, v4                                // 000000002DB0: 200C0882
	v_lshlrev_b32_e32 v6, 6, v6                                // 000000002DB4: 240C0C86
	v_add_u32_e32 v5, v6, v5                                   // 000000002DB8: 680A0B06
	v_and_b32_e32 v4, 3, v0                                    // 000000002DBC: 26080083
	v_add_u32_e32 v5, v4, v5                                   // 000000002DC0: 680A0B04
	v_lshlrev_b32_e32 v22, 2, v5                               // 000000002DC4: 242C0A82
	s_mul_i32 s60, s7, 16                                      // 000000002DC8: 923C9007
	s_mul_i32 s60, s60, 4                                      // 000000002DCC: 923C843C
	v_add_u32_e32 v22, s60, v22                                // 000000002DD0: 682C2C3C
	s_mul_i32 s60, s2, 64                                      // 000000002DD4: 923CC002
	s_mul_i32 s60, s60, 4                                      // 000000002DD8: 923C843C
	s_mul_i32 s61, s5, s74                                     // 000000002DDC: 923D4A05
	s_add_u32 s61, s61, s60                                    // 000000002DE0: 803D3C3D
	s_add_u32 s32, s61, s32                                    // 000000002DE4: 8020203D
	s_addc_u32 s33, 0, s33                                     // 000000002DE8: 82212180
	s_mov_b32 s57, 0x80                                        // 000000002DEC: BEB900FF 00000080
	s_mov_b32 s58, 0x800                                       // 000000002DF4: BEBA00FF 00000800
	s_mov_b32 s83, s58                                         // 000000002DFC: BED3003A
	s_mov_b32 s52, 0x7060302                                   // 000000002E00: BEB400FF 07060302
	s_mov_b32 s53, 0x400                                       // 000000002E08: BEB500FF 00000400
	s_mov_b32 s54, 0x40100                                     // 000000002E10: BEB600FF 00040100
	s_mov_b32 s55, 0x4020100                                   // 000000002E18: BEB700FF 04020100
	s_mov_b32 s6, 0x3fb8aa3b                                   // 000000002E20: BE8600FF 3FB8AA3B
	s_mov_b32 s78, 0xbd92220c                                  // 000000002E28: BECE00FF BD92220C
	s_mov_b32 s79, 0xbd92220c                                  // 000000002E30: BECF00FF BD92220C
	s_mov_b32 m0, s48                                          // 000000002E38: BEFC0030
	v_mov_b32_e32 v1, 0xbfcc4231                               // 000000002E3C: 7E0202FF BFCC4231
	v_mov_b32_e32 v17, 0xffff0000                              // 000000002E44: 7E2202FF FFFF0000
	v_mov_b32_e32 v18, 0x7fff0000                              // 000000002E4C: 7E2402FF 7FFF0000
	v_mov_b32_e32 v19, 0x7fff                                  // 000000002E54: 7E2602FF 00007FFF
	s_waitcnt vmcnt(0) expcnt(0) lgkmcnt(0)                    // 000000002E5C: BF8C0000
	v_lshrrev_b32_e32 v4, 5, v0                                // 000000002E60: 20080085
	v_xor_b32_e32 v5, 1, v4                                    // 000000002E64: 2A0A0881
	v_readlane_b32 s82, v3, 0                                  // 000000002E68: D2890052 00010103
	s_and_b32 s82, s82, 0xffffff                               // 000000002E70: 8652FF52 00FFFFFF
	v_mul_lo_u32 v6, v5, s82                                   // 000000002E78: D2850006 0000A505
	v_readlane_b32 s82, v3, 1                                  // 000000002E80: D2890052 00010303
	s_and_b32 s82, s82, 0xffffff                               // 000000002E88: 8652FF52 00FFFFFF
	v_mul_lo_u32 v7, v4, s82                                   // 000000002E90: D2850007 0000A504
	v_add_u32_e32 v32, v6, v7                                  // 000000002E98: 68400F06
	v_mul_lo_u32 v32, v32, s68                                 // 000000002E9C: D2850020 00008920
	v_readlane_b32 s82, v3, 2                                  // 000000002EA4: D2890052 00010503
	s_and_b32 s82, s82, 0xffffff                               // 000000002EAC: 8652FF52 00FFFFFF
	v_mul_lo_u32 v6, v5, s82                                   // 000000002EB4: D2850006 0000A505
	v_readlane_b32 s82, v3, 3                                  // 000000002EBC: D2890052 00010703
	s_and_b32 s82, s82, 0xffffff                               // 000000002EC4: 8652FF52 00FFFFFF
	v_mul_lo_u32 v7, v4, s82                                   // 000000002ECC: D2850007 0000A504
	v_add_u32_e32 v33, v6, v7                                  // 000000002ED4: 68420F06
	v_mul_lo_u32 v33, v33, s68                                 // 000000002ED8: D2850021 00008921
	v_and_b32_e32 v4, 31, v0                                   // 000000002EE0: 2608009F
	v_lshlrev_b32_e32 v4, 2, v4                                // 000000002EE4: 24080882
	v_add_u32_e32 v32, v32, v4                                 // 000000002EE8: 68400920
	v_add_u32_e32 v33, v33, v4                                 // 000000002EEC: 68420921
	v_and_b32_e32 v28, 0xffffff, v28                           // 000000002EF0: 263838FF 00FFFFFF
	v_lshlrev_b32_e32 v28, 2, v28                              // 000000002EF8: 24383882
	s_lshl_b32 s3, s66, 2                                      // 000000002EFC: 8E038242
	buffer_load_dword v29, v28, s[28:31], 0 offen              // 000000002F00: E0501000 80071D1C
	buffer_load_dword v24, v22, s[32:35], 0 offen              // 000000002F08: E0501000 80081816
	s_mul_i32 s60, 4, s65                                      // 000000002F10: 923C4184
	s_add_u32 s32, s60, s32                                    // 000000002F14: 8020203C
	s_addc_u32 s33, 0, s33                                     // 000000002F18: 82212180
	buffer_load_dword v26, v22, s[32:35], 0 offen              // 000000002F1C: E0501000 80081A16
	buffer_load_dword v32, s[20:23], 0 offen lds               // 000000002F24: E0511000 80050020
	s_add_u32 m0, 0x100, s48                                   // 000000002F2C: 807C30FF 00000100
	buffer_load_dword v33, s[20:23], 0 offen lds               // 000000002F34: E0511000 80050021
	s_add_u32 m0, 0, s49                                       // 000000002F3C: 807C3180
	s_add_u32 s20, s57, s20                                    // 000000002F40: 80141439
	s_addc_u32 s21, 0, s21                                     // 000000002F44: 82151580
	buffer_load_dword v32, s[20:23], 0 offen lds               // 000000002F48: E0511000 80050020
	s_add_u32 m0, 0x100, s49                                   // 000000002F50: 807C31FF 00000100
	buffer_load_dword v33, s[20:23], 0 offen lds               // 000000002F58: E0511000 80050021
	s_add_u32 m0, 0, s48                                       // 000000002F60: 807C3080
	s_add_u32 s20, s57, s20                                    // 000000002F64: 80141439
	s_addc_u32 s21, 0, s21                                     // 000000002F68: 82151580
	buffer_load_dwordx4 a[16:19], v34, s[24:27], 0 offen       // 000000002F6C: E05C1000 80861022
	buffer_load_dwordx4 a[20:23], v34, s[24:27], 0 offen offset:1024// 000000002F74: E05C1400 80861422
	s_add_u32 s24, s58, s24                                    // 000000002F7C: 8018183A
	s_addc_u32 s25, 0, s25                                     // 000000002F80: 82191980
	s_waitcnt vmcnt(4)                                         // 000000002F84: BF8C0F74
	s_barrier                                                  // 000000002F88: BF8A0000
	ds_read_b128 a[0:3], v2                                    // 000000002F8C: DBFE0000 00000002
	ds_read_b128 a[4:7], v2 offset:64                          // 000000002F94: DBFE0040 04000002
	s_cmp_lt_i32 s7, 2                                         // 000000002F9C: BF048207
	s_cbranch_scc0 label_03D8                                  // 000000002FA0: BF84026C

0000000000002fa4 <label_0169>:
	s_waitcnt vmcnt(0) lgkmcnt(0)                              // 000000002FA4: BF8C0070
	s_barrier                                                  // 000000002FA8: BF8A0000
	v_mfma_f32_16x16x32_fp8_fp8 v[36:39], a[16:17], a[0:1], v[36:39]// 000000002FAC: D3F30024 1C920110
	v_mfma_f32_16x16x32_fp8_fp8 v[36:39], a[18:19], a[2:3], v[36:39]// 000000002FB4: D3F30024 1C920512
	buffer_load_dwordx4 a[24:27], v34, s[84:87], 0 offen       // 000000002FBC: E05C1000 80951822
	s_add_u32 s60, 0x80, s80                                   // 000000002FC4: 803C50FF 00000080
	s_cmp_lt_u32 s60, s81                                      // 000000002FCC: BF0A513C
	s_cselect_b32 s83, s83, 0                                  // 000000002FD0: 85538053
	v_mfma_f32_16x16x32_fp8_fp8 v[36:39], a[20:21], a[4:5], v[36:39]// 000000002FD4: D3F30024 1C920914
	v_mfma_f32_16x16x32_fp8_fp8 v[36:39], a[22:23], a[6:7], v[36:39]// 000000002FDC: D3F30024 1C920D16
	buffer_load_dwordx4 a[28:31], v34, s[84:87], 0 offen offset:1024// 000000002FE4: E05C1400 80951C22
	buffer_load_dword v32, s[20:23], 0 offen lds               // 000000002FEC: E0511000 80050020
	s_add_u32 m0, 0x100, s48                                   // 000000002FF4: 807C30FF 00000100
	buffer_load_dword v33, s[20:23], 0 offen lds               // 000000002FFC: E0511000 80050021
	s_add_u32 m0, 0, s49                                       // 000000003004: 807C3180
	s_waitcnt vmcnt(2)                                         // 000000003008: BF8C0F72
	v_mfma_f32_16x16x32_fp8_fp8 v[40:43], a[24:25], a[0:1], v[40:43]// 00000000300C: D3F30028 1CA20118
	v_mfma_f32_16x16x32_fp8_fp8 v[40:43], a[26:27], a[2:3], v[40:43]// 000000003014: D3F30028 1CA2051A
	buffer_load_dwordx4 a[16:19], v34, s[24:27], 0 offen       // 00000000301C: E05C1000 80861022
	v_mfma_f32_16x16x32_fp8_fp8 v[40:43], a[28:29], a[4:5], v[40:43]// 000000003024: D3F30028 1CA2091C
	s_add_u32 s84, s83, s84                                    // 00000000302C: 80545453
	s_addc_u32 s85, 0, s85                                     // 000000003030: 82555580
	v_mfma_f32_16x16x32_fp8_fp8 v[40:43], a[30:31], a[6:7], v[40:43]// 000000003034: D3F30028 1CA20D1E
	ds_read_b128 a[8:11], v2 offset:2176                       // 00000000303C: DBFE0880 08000002
	ds_read_b128 a[12:15], v2 offset:2240                      // 000000003044: DBFE08C0 0C000002
	buffer_load_dwordx4 a[20:23], v34, s[24:27], 0 offen offset:1024// 00000000304C: E05C1400 80861422
	s_add_u32 s60, 0x180, s80                                  // 000000003054: 803C50FF 00000180
	s_cmp_lt_u32 s60, s81                                      // 00000000305C: BF0A513C
	s_cselect_b32 s57, s57, 0                                  // 000000003060: 85398039
	s_add_u32 s60, 0x100, s80                                  // 000000003064: 803C50FF 00000100
	s_cmp_lt_u32 s60, s81                                      // 00000000306C: BF0A513C
	s_cselect_b32 s58, s58, 0                                  // 000000003070: 853A803A
	s_add_u32 s20, s57, s20                                    // 000000003074: 80141439
	s_addc_u32 s21, 0, s21                                     // 000000003078: 82151580
	s_add_u32 s24, s58, s24                                    // 00000000307C: 8018183A
	s_addc_u32 s25, 0, s25                                     // 000000003080: 82191980
	s_addk_i32 s80, 0x80                                       // 000000003084: B7500080
	s_cmp_lt_i32 s80, s81                                      // 000000003088: BF045150
	s_cbranch_scc0 label_01E0                                  // 00000000308C: BF84003C
	s_waitcnt vmcnt(0) lgkmcnt(0)                              // 000000003090: BF8C0070
	s_barrier                                                  // 000000003094: BF8A0000
	v_mfma_f32_16x16x32_fp8_fp8 v[36:39], a[16:17], a[8:9], v[36:39]// 000000003098: D3F30024 1C921110
	v_mfma_f32_16x16x32_fp8_fp8 v[36:39], a[18:19], a[10:11], v[36:39]// 0000000030A0: D3F30024 1C921512
	buffer_load_dwordx4 a[24:27], v34, s[84:87], 0 offen       // 0000000030A8: E05C1000 80951822
	s_add_u32 s60, 0x80, s80                                   // 0000000030B0: 803C50FF 00000080
	s_cmp_lt_u32 s60, s81                                      // 0000000030B8: BF0A513C
	s_cselect_b32 s83, s83, 0                                  // 0000000030BC: 85538053
	v_mfma_f32_16x16x32_fp8_fp8 v[36:39], a[20:21], a[12:13], v[36:39]// 0000000030C0: D3F30024 1C921914
	v_mfma_f32_16x16x32_fp8_fp8 v[36:39], a[22:23], a[14:15], v[36:39]// 0000000030C8: D3F30024 1C921D16
	buffer_load_dwordx4 a[28:31], v34, s[84:87], 0 offen offset:1024// 0000000030D0: E05C1400 80951C22
	buffer_load_dword v32, s[20:23], 0 offen lds               // 0000000030D8: E0511000 80050020
	s_add_u32 m0, 0x100, s49                                   // 0000000030E0: 807C31FF 00000100
	buffer_load_dword v33, s[20:23], 0 offen lds               // 0000000030E8: E0511000 80050021
	s_add_u32 m0, 0, s48                                       // 0000000030F0: 807C3080
	s_waitcnt vmcnt(2)                                         // 0000000030F4: BF8C0F72
	v_mfma_f32_16x16x32_fp8_fp8 v[40:43], a[24:25], a[8:9], v[40:43]// 0000000030F8: D3F30028 1CA21118
	v_mfma_f32_16x16x32_fp8_fp8 v[40:43], a[26:27], a[10:11], v[40:43]// 000000003100: D3F30028 1CA2151A
	buffer_load_dwordx4 a[16:19], v34, s[24:27], 0 offen       // 000000003108: E05C1000 80861022
	v_mfma_f32_16x16x32_fp8_fp8 v[40:43], a[28:29], a[12:13], v[40:43]// 000000003110: D3F30028 1CA2191C
	s_add_u32 s84, s83, s84                                    // 000000003118: 80545453
	s_addc_u32 s85, 0, s85                                     // 00000000311C: 82555580
	v_mfma_f32_16x16x32_fp8_fp8 v[40:43], a[30:31], a[14:15], v[40:43]// 000000003120: D3F30028 1CA21D1E
	ds_read_b128 a[0:3], v2                                    // 000000003128: DBFE0000 00000002
	ds_read_b128 a[4:7], v2 offset:64                          // 000000003130: DBFE0040 04000002
	buffer_load_dwordx4 a[20:23], v34, s[24:27], 0 offen offset:1024// 000000003138: E05C1400 80861422
	s_add_u32 s60, 0x180, s80                                  // 000000003140: 803C50FF 00000180
	s_cmp_lt_u32 s60, s81                                      // 000000003148: BF0A513C
	s_cselect_b32 s57, s57, 0                                  // 00000000314C: 85398039
	s_add_u32 s60, 0x100, s80                                  // 000000003150: 803C50FF 00000100
	s_cmp_lt_u32 s60, s81                                      // 000000003158: BF0A513C
	s_cselect_b32 s58, s58, 0                                  // 00000000315C: 853A803A
	s_add_u32 s20, s57, s20                                    // 000000003160: 80141439
	s_addc_u32 s21, 0, s21                                     // 000000003164: 82151580
	s_add_u32 s24, s58, s24                                    // 000000003168: 8018183A
	s_addc_u32 s25, 0, s25                                     // 00000000316C: 82191980
	s_addk_i32 s80, 0x80                                       // 000000003170: B7500080
	s_cmp_lt_i32 s80, s81                                      // 000000003174: BF045150
	s_cbranch_scc0 label_01E0                                  // 000000003178: BF840001
	s_branch label_0169                                        // 00000000317C: BF82FF89

0000000000003180 <label_01E0>:
	v_mul_f32_dpp v36, v24, v36 row_newbcast:0 row_mask:0xf bank_mask:0xf// 000000003180: 0A4848FA FF015018
	v_mul_f32_dpp v37, v24, v37 row_newbcast:1 row_mask:0xf bank_mask:0xf// 000000003188: 0A4A4AFA FF015118
	v_mul_f32_dpp v38, v24, v38 row_newbcast:2 row_mask:0xf bank_mask:0xf// 000000003190: 0A4C4CFA FF015218
	v_mul_f32_dpp v39, v24, v39 row_newbcast:3 row_mask:0xf bank_mask:0xf// 000000003198: 0A4E4EFA FF015318
	v_mul_f32_dpp v40, v26, v40 row_newbcast:0 row_mask:0xf bank_mask:0xf// 0000000031A0: 0A5050FA FF01501A
	v_mul_f32_dpp v41, v26, v41 row_newbcast:1 row_mask:0xf bank_mask:0xf// 0000000031A8: 0A5252FA FF01511A
	v_mul_f32_dpp v42, v26, v42 row_newbcast:2 row_mask:0xf bank_mask:0xf// 0000000031B0: 0A5454FA FF01521A
	v_mul_f32_dpp v43, v26, v43 row_newbcast:3 row_mask:0xf bank_mask:0xf// 0000000031B8: 0A5656FA FF01531A
	v_mov_b32_e32 v4, v29                                      // 0000000031C0: 7E08031D
	v_mov_b32_e32 v5, v4                                       // 0000000031C4: 7E0A0304
	v_pk_mul_f32 v[36:37], v[4:5], v[36:37]                    // 0000000031C8: D3B14024 18024904
	v_pk_mul_f32 v[40:41], v[4:5], v[40:41]                    // 0000000031D0: D3B14028 18025104
	v_pk_mul_f32 v[38:39], v[4:5], v[38:39]                    // 0000000031D8: D3B14026 18024D04
	v_pk_mul_f32 v[42:43], v[4:5], v[42:43]                    // 0000000031E0: D3B1402A 18025504
	s_cmp_eq_u32 s88, 0                                        // 0000000031E8: BF068058
	s_cbranch_scc0 label_02D7                                  // 0000000031EC: BF8400DB
	s_cmp_eq_u32 s89, 0                                        // 0000000031F0: BF068059
	s_cbranch_scc1 label_022B                                  // 0000000031F4: BF85002D
	v_mov_b32_e32 v8, v1                                       // 0000000031F8: 7E100301
	v_mov_b32_e32 v9, v1                                       // 0000000031FC: 7E120301
	s_mov_b32 s60, s6                                          // 000000003200: BEBC0006
	s_mov_b32 s61, s6                                          // 000000003204: BEBD0006
	v_pk_mul_f32 v[4:5], v[36:37], v[36:37]                    // 000000003208: D3B14004 18024924
	v_pk_mul_f32 v[6:7], v[38:39], v[38:39]                    // 000000003210: D3B14006 18024D26
	v_pk_fma_f32 v[4:5], v[4:5], s[78:79], v[8:9]              // 000000003218: D3B04004 1C209D04
	v_pk_fma_f32 v[6:7], v[6:7], s[78:79], v[8:9]              // 000000003220: D3B04006 1C209D06
	v_pk_mul_f32 v[4:5], v[4:5], v[36:37]                      // 000000003228: D3B14004 18024904
	v_pk_mul_f32 v[6:7], v[6:7], v[38:39]                      // 000000003230: D3B14006 18024D06
	v_pk_mul_f32 v[4:5], v[4:5], s[60:61]                      // 000000003238: D3B14004 18007904
	v_pk_mul_f32 v[6:7], v[6:7], s[60:61]                      // 000000003240: D3B14006 18007906
	v_exp_f32_e32 v4, v4                                       // 000000003248: 7E084104
	v_exp_f32_e32 v5, v5                                       // 00000000324C: 7E0A4105
	v_exp_f32_e32 v6, v6                                       // 000000003250: 7E0C4106
	v_exp_f32_e32 v7, v7                                       // 000000003254: 7E0E4107
	v_add_f32_e64 v4, v4, 1.0                                  // 000000003258: D1010004 0001E504
	v_add_f32_e64 v5, v5, 1.0                                  // 000000003260: D1010005 0001E505
	v_add_f32_e64 v6, v6, 1.0                                  // 000000003268: D1010006 0001E506
	v_add_f32_e64 v7, v7, 1.0                                  // 000000003270: D1010007 0001E507
	v_rcp_f32_e32 v4, v4                                       // 000000003278: 7E084504
	v_rcp_f32_e32 v5, v5                                       // 00000000327C: 7E0A4505
	v_rcp_f32_e32 v6, v6                                       // 000000003280: 7E0C4506
	v_rcp_f32_e32 v7, v7                                       // 000000003284: 7E0E4507
	v_mul_f32_e32 v36, v36, v4                                 // 000000003288: 0A480924
	v_mul_f32_e32 v37, v37, v5                                 // 00000000328C: 0A4A0B25
	v_mul_f32_e32 v38, v38, v6                                 // 000000003290: 0A4C0D26
	v_mul_f32_e32 v39, v39, v7                                 // 000000003294: 0A4E0F27
	v_mul_f32_e32 v36, v36, v40                                // 000000003298: 0A485124
	v_mul_f32_e32 v37, v37, v41                                // 00000000329C: 0A4A5325
	v_mul_f32_e32 v38, v38, v42                                // 0000000032A0: 0A4C5526
	v_mul_f32_e32 v39, v39, v43                                // 0000000032A4: 0A4E5727
	s_branch label_024B                                        // 0000000032A8: BF820020

00000000000032ac <label_022B>:
	v_mul_f32_e64 v4, -v36, s6                                 // 0000000032AC: D1050004 20000D24
	v_mul_f32_e64 v5, -v37, s6                                 // 0000000032B4: D1050005 20000D25
	v_mul_f32_e64 v6, -v38, s6                                 // 0000000032BC: D1050006 20000D26
	v_mul_f32_e64 v7, -v39, s6                                 // 0000000032C4: D1050007 20000D27
	v_exp_f32_e32 v4, v4                                       // 0000000032CC: 7E084104
	v_exp_f32_e32 v5, v5                                       // 0000000032D0: 7E0A4105
	v_exp_f32_e32 v6, v6                                       // 0000000032D4: 7E0C4106
	v_exp_f32_e32 v7, v7                                       // 0000000032D8: 7E0E4107
	v_add_f32_e64 v4, v4, 1.0                                  // 0000000032DC: D1010004 0001E504
	v_add_f32_e64 v5, v5, 1.0                                  // 0000000032E4: D1010005 0001E505
	v_add_f32_e64 v6, v6, 1.0                                  // 0000000032EC: D1010006 0001E506
	v_add_f32_e64 v7, v7, 1.0                                  // 0000000032F4: D1010007 0001E507
	v_rcp_f32_e32 v4, v4                                       // 0000000032FC: 7E084504
	v_rcp_f32_e32 v5, v5                                       // 000000003300: 7E0A4505
	v_rcp_f32_e32 v6, v6                                       // 000000003304: 7E0C4506
	v_rcp_f32_e32 v7, v7                                       // 000000003308: 7E0E4507
	v_mul_f32_e32 v36, v36, v4                                 // 00000000330C: 0A480924
	v_mul_f32_e32 v37, v37, v5                                 // 000000003310: 0A4A0B25
	v_mul_f32_e32 v38, v38, v6                                 // 000000003314: 0A4C0D26
	v_mul_f32_e32 v39, v39, v7                                 // 000000003318: 0A4E0F27
	v_mul_f32_e32 v36, v36, v40                                // 00000000331C: 0A485124
	v_mul_f32_e32 v37, v37, v41                                // 000000003320: 0A4A5325
	v_mul_f32_e32 v38, v38, v42                                // 000000003324: 0A4C5526
	v_mul_f32_e32 v39, v39, v43                                // 000000003328: 0A4E5727

000000000000332c <label_024B>:
	v_cmp_u_f32_e64 s[46:47], v36, v36                         // 00000000332C: D048002E 00024924
	v_add3_u32 v16, v36, v19, 1                                // 000000003334: D1FF0010 02062724
	v_cndmask_b32_e64 v4, v16, v18, s[46:47]                   // 00000000333C: D1000004 00BA2510
	v_cmp_u_f32_e64 s[46:47], v37, v37                         // 000000003344: D048002E 00024B25
	v_add3_u32 v16, v37, v19, 1                                // 00000000334C: D1FF0010 02062725
	v_cndmask_b32_e64 v5, v16, v18, s[46:47]                   // 000000003354: D1000005 00BA2510
	v_perm_b32 v36, v5, v4, s52                                // 00000000335C: D1ED0024 00D20905
	v_cmp_u_f32_e64 s[46:47], v38, v38                         // 000000003364: D048002E 00024D26
	v_add3_u32 v16, v38, v19, 1                                // 00000000336C: D1FF0010 02062726
	v_cndmask_b32_e64 v4, v16, v18, s[46:47]                   // 000000003374: D1000004 00BA2510
	v_cmp_u_f32_e64 s[46:47], v39, v39                         // 00000000337C: D048002E 00024F27
	v_add3_u32 v16, v39, v19, 1                                // 000000003384: D1FF0010 02062727
	v_cndmask_b32_e64 v5, v16, v18, s[46:47]                   // 00000000338C: D1000005 00BA2510
	v_perm_b32 v37, v5, v4, s52                                // 000000003394: D1ED0025 00D20905
	ds_write_b64 v20, v[36:37]                                 // 00000000339C: D89A0000 00002414
	v_lshrrev_b32_e32 v4, 5, v0                                // 0000000033A4: 20080085
	v_xor_b32_e32 v5, 1, v4                                    // 0000000033A8: 2A0A0881
	s_mul_i32 s60, s65, 2                                      // 0000000033AC: 923C8241
	s_cmp_eq_u32 s88, 0                                        // 0000000033B0: BF068058
	s_cselect_b32 s61, 1, 4                                    // 0000000033B4: 853D8481
	s_mul_i32 s60, s61, s60                                    // 0000000033B8: 923C3C3D
	v_readlane_b32 s82, v3, 0                                  // 0000000033BC: D2890052 00010103
	s_lshr_b32 s61, s82, 24                                    // 0000000033C4: 8F3D9852
	s_and_b32 s82, s82, 0xffffff                               // 0000000033C8: 8652FF52 00FFFFFF
	s_mul_i32 s82, s82, s71                                    // 0000000033D0: 92524752
	s_mul_i32 s61, s60, s61                                    // 0000000033D4: 923D3D3C
	s_add_u32 s82, s82, s61                                    // 0000000033D8: 80523D52
	v_mul_lo_u32 v6, v5, s82                                   // 0000000033DC: D2850006 0000A505
	v_readlane_b32 s82, v3, 1                                  // 0000000033E4: D2890052 00010303
	s_lshr_b32 s61, s82, 24                                    // 0000000033EC: 8F3D9852
	s_and_b32 s82, s82, 0xffffff                               // 0000000033F0: 8652FF52 00FFFFFF
	s_mul_i32 s82, s82, s71                                    // 0000000033F8: 92524752
	s_mul_i32 s61, s60, s61                                    // 0000000033FC: 923D3D3C
	s_add_u32 s82, s82, s61                                    // 000000003400: 80523D52
	v_mul_lo_u32 v7, v4, s82                                   // 000000003404: D2850007 0000A504
	v_add_u32_e32 v32, v6, v7                                  // 00000000340C: 68400F06
	v_readlane_b32 s82, v3, 2                                  // 000000003410: D2890052 00010503
	s_lshr_b32 s61, s82, 24                                    // 000000003418: 8F3D9852
	s_and_b32 s82, s82, 0xffffff                               // 00000000341C: 8652FF52 00FFFFFF
	s_mul_i32 s82, s82, s71                                    // 000000003424: 92524752
	s_mul_i32 s61, s60, s61                                    // 000000003428: 923D3D3C
	s_add_u32 s82, s82, s61                                    // 00000000342C: 80523D52
	v_mul_lo_u32 v6, v5, s82                                   // 000000003430: D2850006 0000A505
	v_readlane_b32 s82, v3, 3                                  // 000000003438: D2890052 00010703
	s_lshr_b32 s61, s82, 24                                    // 000000003440: 8F3D9852
	s_and_b32 s82, s82, 0xffffff                               // 000000003444: 8652FF52 00FFFFFF
	s_mul_i32 s82, s82, s71                                    // 00000000344C: 92524752
	s_mul_i32 s61, s60, s61                                    // 000000003450: 923D3D3C
	s_add_u32 s82, s82, s61                                    // 000000003454: 80523D52
	v_mul_lo_u32 v7, v4, s82                                   // 000000003458: D2850007 0000A504
	v_add_u32_e32 v33, v6, v7                                  // 000000003460: 68420F06
	v_and_b32_e32 v4, 31, v0                                   // 000000003464: 2608009F
	v_lshrrev_b32_e32 v4, 1, v4                                // 000000003468: 20080881
	s_cmp_eq_u32 s88, 0                                        // 00000000346C: BF068058
	s_cselect_b32 s61, 2, 4                                    // 000000003470: 853D8482
	v_mul_lo_u32 v4, v4, s61                                   // 000000003474: D2850004 00007B04
	v_and_b32_e64 v5, v0, 1                                    // 00000000347C: D1130005 00010300
	v_add_u32_e32 v4, v4, v5                                   // 000000003484: 68080B04
	v_lshlrev_b32_e32 v4, 2, v4                                // 000000003488: 24080882
	v_add_u32_e32 v32, v32, v4                                 // 00000000348C: 68400920
	v_add_u32_e32 v33, v33, v4                                 // 000000003490: 68420921
	s_waitcnt lgkmcnt(0)                                       // 000000003494: BF8CC07F
	s_barrier                                                  // 000000003498: BF8A0000
	ds_read_b32 v36, v21                                       // 00000000349C: D86C0000 24000015
	ds_read_b32 v37, v21 offset:64                             // 0000000034A4: D86C0040 25000015
	s_waitcnt lgkmcnt(0)                                       // 0000000034AC: BF8CC07F
	s_mov_b32 s36, -1                                          // 0000000034B0: BEA400C1
	s_mov_b32 s37, -1                                          // 0000000034B4: BEA500C1
	v_mov_b32_e32 v7, 0                                        // 0000000034B8: 7E0E0280
	s_or_b32 s9, s9, 0x40000                                   // 0000000034BC: 8709FF09 00040000
	s_mov_b64 exec, s[36:37]                                   // 0000000034C4: BEFE0124
	v_mov_b32_e32 v6, v32                                      // 0000000034C8: 7E0C0320
	s_mov_b64 s[60:61], 0                                      // 0000000034CC: BEBC0180
	v_readlane_b32 s82, v3, 0                                  // 0000000034D0: D2890052 00010103
	s_and_b32 s82, s82, 0xffffff                               // 0000000034D8: 8652FF52 00FFFFFF
	s_cmp_lt_u32 s82, s66                                      // 0000000034E0: BF0A4252
	s_cselect_b32 s20, s36, s60                                // 0000000034E4: 85143C24
	v_readlane_b32 s82, v3, 1                                  // 0000000034E8: D2890052 00010303
	s_and_b32 s82, s82, 0xffffff                               // 0000000034F0: 8652FF52 00FFFFFF
	s_cmp_lt_u32 s82, s66                                      // 0000000034F8: BF0A4252
	s_cselect_b32 s21, s36, s60                                // 0000000034FC: 85153C24
	s_mov_b64 exec, s[20:21]                                   // 000000003500: BEFE0114
	buffer_store_dword v36, v6, s[8:11], 0 offen               // 000000003504: E0701000 80022406
	s_mov_b64 exec, s[36:37]                                   // 00000000350C: BEFE0124
	v_mov_b32_e32 v6, v33                                      // 000000003510: 7E0C0321
	s_mov_b64 s[60:61], 0                                      // 000000003514: BEBC0180
	v_readlane_b32 s82, v3, 2                                  // 000000003518: D2890052 00010503
	s_and_b32 s82, s82, 0xffffff                               // 000000003520: 8652FF52 00FFFFFF
	s_cmp_lt_u32 s82, s66                                      // 000000003528: BF0A4252
	s_cselect_b32 s20, s36, s60                                // 00000000352C: 85143C24
	v_readlane_b32 s82, v3, 3                                  // 000000003530: D2890052 00010703
	s_and_b32 s82, s82, 0xffffff                               // 000000003538: 8652FF52 00FFFFFF
	s_cmp_lt_u32 s82, s66                                      // 000000003540: BF0A4252
	s_cselect_b32 s21, s36, s60                                // 000000003544: 85153C24
	s_mov_b64 exec, s[20:21]                                   // 000000003548: BEFE0114
	buffer_store_dword v37, v6, s[8:11], 0 offen               // 00000000354C: E0701000 80022506
	s_mov_b64 exec, s[36:37]                                   // 000000003554: BEFE0124
	s_branch label_0644                                        // 000000003558: BF82036A

000000000000355c <label_02D7>:
	ds_write_b64 v20, v[36:37]                                 // 00000000355C: D89A0000 00002414
	v_lshrrev_b32_e32 v4, 5, v0                                // 000000003564: 20080085
	v_xor_b32_e32 v5, 1, v4                                    // 000000003568: 2A0A0881
	s_mul_i32 s60, s65, 2                                      // 00000000356C: 923C8241
	s_cmp_eq_u32 s88, 0                                        // 000000003570: BF068058
	s_cselect_b32 s61, 1, 4                                    // 000000003574: 853D8481
	s_mul_i32 s60, s61, s60                                    // 000000003578: 923C3C3D
	v_readlane_b32 s82, v3, 0                                  // 00000000357C: D2890052 00010103
	s_lshr_b32 s61, s82, 24                                    // 000000003584: 8F3D9852
	s_and_b32 s82, s82, 0xffffff                               // 000000003588: 8652FF52 00FFFFFF
	s_mul_i32 s82, s82, s71                                    // 000000003590: 92524752
	s_mul_i32 s61, s60, s61                                    // 000000003594: 923D3D3C
	s_add_u32 s82, s82, s61                                    // 000000003598: 80523D52
	v_mul_lo_u32 v6, v5, s82                                   // 00000000359C: D2850006 0000A505
	v_readlane_b32 s82, v3, 1                                  // 0000000035A4: D2890052 00010303
	s_lshr_b32 s61, s82, 24                                    // 0000000035AC: 8F3D9852
	s_and_b32 s82, s82, 0xffffff                               // 0000000035B0: 8652FF52 00FFFFFF
	s_mul_i32 s82, s82, s71                                    // 0000000035B8: 92524752
	s_mul_i32 s61, s60, s61                                    // 0000000035BC: 923D3D3C
	s_add_u32 s82, s82, s61                                    // 0000000035C0: 80523D52
	v_mul_lo_u32 v7, v4, s82                                   // 0000000035C4: D2850007 0000A504
	v_add_u32_e32 v32, v6, v7                                  // 0000000035CC: 68400F06
	v_readlane_b32 s82, v3, 2                                  // 0000000035D0: D2890052 00010503
	s_lshr_b32 s61, s82, 24                                    // 0000000035D8: 8F3D9852
	s_and_b32 s82, s82, 0xffffff                               // 0000000035DC: 8652FF52 00FFFFFF
	s_mul_i32 s82, s82, s71                                    // 0000000035E4: 92524752
	s_mul_i32 s61, s60, s61                                    // 0000000035E8: 923D3D3C
	s_add_u32 s82, s82, s61                                    // 0000000035EC: 80523D52
	v_mul_lo_u32 v6, v5, s82                                   // 0000000035F0: D2850006 0000A505
	v_readlane_b32 s82, v3, 3                                  // 0000000035F8: D2890052 00010703
	s_lshr_b32 s61, s82, 24                                    // 000000003600: 8F3D9852
	s_and_b32 s82, s82, 0xffffff                               // 000000003604: 8652FF52 00FFFFFF
	s_mul_i32 s82, s82, s71                                    // 00000000360C: 92524752
	s_mul_i32 s61, s60, s61                                    // 000000003610: 923D3D3C
	s_add_u32 s82, s82, s61                                    // 000000003614: 80523D52
	v_mul_lo_u32 v7, v4, s82                                   // 000000003618: D2850007 0000A504
	v_add_u32_e32 v33, v6, v7                                  // 000000003620: 68420F06
	v_and_b32_e32 v4, 31, v0                                   // 000000003624: 2608009F
	v_lshrrev_b32_e32 v4, 1, v4                                // 000000003628: 20080881
	s_cmp_eq_u32 s88, 0                                        // 00000000362C: BF068058
	s_cselect_b32 s61, 2, 4                                    // 000000003630: 853D8482
	v_mul_lo_u32 v4, v4, s61                                   // 000000003634: D2850004 00007B04
	v_and_b32_e64 v5, v0, 1                                    // 00000000363C: D1130005 00010300
	v_add_u32_e32 v4, v4, v5                                   // 000000003644: 68080B04
	v_lshlrev_b32_e32 v4, 2, v4                                // 000000003648: 24080882
	v_add_u32_e32 v32, v32, v4                                 // 00000000364C: 68400920
	v_add_u32_e32 v33, v33, v4                                 // 000000003650: 68420921
	s_waitcnt lgkmcnt(0)                                       // 000000003654: BF8CC07F
	s_barrier                                                  // 000000003658: BF8A0000
	ds_read_b32 v36, v21                                       // 00000000365C: D86C0000 24000015
	ds_read_b32 v37, v21 offset:64                             // 000000003664: D86C0040 25000015
	s_waitcnt lgkmcnt(0)                                       // 00000000366C: BF8CC07F
	s_mov_b32 s36, -1                                          // 000000003670: BEA400C1
	s_mov_b32 s37, -1                                          // 000000003674: BEA500C1
	v_mov_b32_e32 v7, 0                                        // 000000003678: 7E0E0280
	s_mov_b64 exec, s[36:37]                                   // 00000000367C: BEFE0124
	v_mov_b32_e32 v6, v32                                      // 000000003680: 7E0C0320
	s_mov_b64 s[60:61], 0                                      // 000000003684: BEBC0180
	v_readlane_b32 s82, v3, 0                                  // 000000003688: D2890052 00010103
	s_and_b32 s82, s82, 0xffffff                               // 000000003690: 8652FF52 00FFFFFF
	s_cmp_lt_u32 s82, s66                                      // 000000003698: BF0A4252
	s_cselect_b32 s20, s36, s60                                // 00000000369C: 85143C24
	v_readlane_b32 s82, v3, 1                                  // 0000000036A0: D2890052 00010303
	s_and_b32 s82, s82, 0xffffff                               // 0000000036A8: 8652FF52 00FFFFFF
	s_cmp_lt_u32 s82, s66                                      // 0000000036B0: BF0A4252
	s_cselect_b32 s21, s36, s60                                // 0000000036B4: 85153C24
	s_mov_b64 exec, s[20:21]                                   // 0000000036B8: BEFE0114
	global_atomic_add_f32 v6, v36, s[8:9]                      // 0000000036BC: DD348000 00082406
	s_mov_b64 exec, s[36:37]                                   // 0000000036C4: BEFE0124
	v_mov_b32_e32 v6, v33                                      // 0000000036C8: 7E0C0321
	s_mov_b64 s[60:61], 0                                      // 0000000036CC: BEBC0180
	v_readlane_b32 s82, v3, 2                                  // 0000000036D0: D2890052 00010503
	s_and_b32 s82, s82, 0xffffff                               // 0000000036D8: 8652FF52 00FFFFFF
	s_cmp_lt_u32 s82, s66                                      // 0000000036E0: BF0A4252
	s_cselect_b32 s20, s36, s60                                // 0000000036E4: 85143C24
	v_readlane_b32 s82, v3, 3                                  // 0000000036E8: D2890052 00010703
	s_and_b32 s82, s82, 0xffffff                               // 0000000036F0: 8652FF52 00FFFFFF
	s_cmp_lt_u32 s82, s66                                      // 0000000036F8: BF0A4252
	s_cselect_b32 s21, s36, s60                                // 0000000036FC: 85153C24
	s_mov_b64 exec, s[20:21]                                   // 000000003700: BEFE0114
	global_atomic_add_f32 v6, v37, s[8:9]                      // 000000003704: DD348000 00082506
	s_mov_b64 exec, s[36:37]                                   // 00000000370C: BEFE0124
	ds_write_b64 v20, v[38:39]                                 // 000000003710: D89A0000 00002614
	s_waitcnt lgkmcnt(0)                                       // 000000003718: BF8CC07F
	s_barrier                                                  // 00000000371C: BF8A0000
	ds_read_b32 v38, v21                                       // 000000003720: D86C0000 26000015
	ds_read_b32 v39, v21 offset:64                             // 000000003728: D86C0040 27000015
	s_waitcnt lgkmcnt(0)                                       // 000000003730: BF8CC07F
	v_mov_b32_e32 v7, 0                                        // 000000003734: 7E0E0280
	s_mov_b64 exec, s[36:37]                                   // 000000003738: BEFE0124
	v_mov_b32_e32 v6, v32                                      // 00000000373C: 7E0C0320
	s_mov_b64 s[60:61], 0                                      // 000000003740: BEBC0180
	v_readlane_b32 s82, v3, 0                                  // 000000003744: D2890052 00010103
	s_and_b32 s82, s82, 0xffffff                               // 00000000374C: 8652FF52 00FFFFFF
	s_cmp_lt_u32 s82, s66                                      // 000000003754: BF0A4252
	s_cselect_b32 s20, s36, s60                                // 000000003758: 85143C24
	v_readlane_b32 s82, v3, 1                                  // 00000000375C: D2890052 00010303
	s_and_b32 s82, s82, 0xffffff                               // 000000003764: 8652FF52 00FFFFFF
	s_cmp_lt_u32 s82, s66                                      // 00000000376C: BF0A4252
	s_cselect_b32 s21, s36, s60                                // 000000003770: 85153C24
	s_mov_b64 exec, s[20:21]                                   // 000000003774: BEFE0114
	global_atomic_add_f32 v6, v38, s[8:9] offset:8             // 000000003778: DD348008 00082606
	s_mov_b64 exec, s[36:37]                                   // 000000003780: BEFE0124
	v_mov_b32_e32 v6, v33                                      // 000000003784: 7E0C0321
	s_mov_b64 s[60:61], 0                                      // 000000003788: BEBC0180
	v_readlane_b32 s82, v3, 2                                  // 00000000378C: D2890052 00010503
	s_and_b32 s82, s82, 0xffffff                               // 000000003794: 8652FF52 00FFFFFF
	s_cmp_lt_u32 s82, s66                                      // 00000000379C: BF0A4252
	s_cselect_b32 s20, s36, s60                                // 0000000037A0: 85143C24
	v_readlane_b32 s82, v3, 3                                  // 0000000037A4: D2890052 00010703
	s_and_b32 s82, s82, 0xffffff                               // 0000000037AC: 8652FF52 00FFFFFF
	s_cmp_lt_u32 s82, s66                                      // 0000000037B4: BF0A4252
	s_cselect_b32 s21, s36, s60                                // 0000000037B8: 85153C24
	s_mov_b64 exec, s[20:21]                                   // 0000000037BC: BEFE0114
	global_atomic_add_f32 v6, v39, s[8:9] offset:8             // 0000000037C0: DD348008 00082706
	s_mov_b64 exec, s[36:37]                                   // 0000000037C8: BEFE0124
	ds_write_b64 v20, v[40:41]                                 // 0000000037CC: D89A0000 00002814
	s_waitcnt lgkmcnt(0)                                       // 0000000037D4: BF8CC07F
	s_barrier                                                  // 0000000037D8: BF8A0000
	ds_read_b32 v40, v21                                       // 0000000037DC: D86C0000 28000015
	ds_read_b32 v41, v21 offset:64                             // 0000000037E4: D86C0040 29000015
	s_mul_i32 s60, s65, 4                                      // 0000000037EC: 923C8441
	s_add_u32 s8, s60, s8                                      // 0000000037F0: 8008083C
	s_addc_u32 s9, 0, s9                                       // 0000000037F4: 82090980
	s_waitcnt lgkmcnt(0)                                       // 0000000037F8: BF8CC07F
	v_mov_b32_e32 v7, 0                                        // 0000000037FC: 7E0E0280
	s_mov_b64 exec, s[36:37]                                   // 000000003800: BEFE0124
	v_mov_b32_e32 v6, v32                                      // 000000003804: 7E0C0320
	s_mov_b64 s[60:61], 0                                      // 000000003808: BEBC0180
	v_readlane_b32 s82, v3, 0                                  // 00000000380C: D2890052 00010103
	s_and_b32 s82, s82, 0xffffff                               // 000000003814: 8652FF52 00FFFFFF
	s_cmp_lt_u32 s82, s66                                      // 00000000381C: BF0A4252
	s_cselect_b32 s20, s36, s60                                // 000000003820: 85143C24
	v_readlane_b32 s82, v3, 1                                  // 000000003824: D2890052 00010303
	s_and_b32 s82, s82, 0xffffff                               // 00000000382C: 8652FF52 00FFFFFF
	s_cmp_lt_u32 s82, s66                                      // 000000003834: BF0A4252
	s_cselect_b32 s21, s36, s60                                // 000000003838: 85153C24
	s_mov_b64 exec, s[20:21]                                   // 00000000383C: BEFE0114
	global_atomic_add_f32 v6, v40, s[8:9]                      // 000000003840: DD348000 00082806
	s_mov_b64 exec, s[36:37]                                   // 000000003848: BEFE0124
	v_mov_b32_e32 v6, v33                                      // 00000000384C: 7E0C0321
	s_mov_b64 s[60:61], 0                                      // 000000003850: BEBC0180
	v_readlane_b32 s82, v3, 2                                  // 000000003854: D2890052 00010503
	s_and_b32 s82, s82, 0xffffff                               // 00000000385C: 8652FF52 00FFFFFF
	s_cmp_lt_u32 s82, s66                                      // 000000003864: BF0A4252
	s_cselect_b32 s20, s36, s60                                // 000000003868: 85143C24
	v_readlane_b32 s82, v3, 3                                  // 00000000386C: D2890052 00010703
	s_and_b32 s82, s82, 0xffffff                               // 000000003874: 8652FF52 00FFFFFF
	s_cmp_lt_u32 s82, s66                                      // 00000000387C: BF0A4252
	s_cselect_b32 s21, s36, s60                                // 000000003880: 85153C24
	s_mov_b64 exec, s[20:21]                                   // 000000003884: BEFE0114
	global_atomic_add_f32 v6, v41, s[8:9]                      // 000000003888: DD348000 00082906
	s_mov_b64 exec, s[36:37]                                   // 000000003890: BEFE0124
	ds_write_b64 v20, v[42:43]                                 // 000000003894: D89A0000 00002A14
	s_waitcnt lgkmcnt(0)                                       // 00000000389C: BF8CC07F
	s_barrier                                                  // 0000000038A0: BF8A0000
	ds_read_b32 v42, v21                                       // 0000000038A4: D86C0000 2A000015
	ds_read_b32 v43, v21 offset:64                             // 0000000038AC: D86C0040 2B000015
	s_waitcnt lgkmcnt(0)                                       // 0000000038B4: BF8CC07F
	v_mov_b32_e32 v7, 0                                        // 0000000038B8: 7E0E0280
	s_mov_b64 exec, s[36:37]                                   // 0000000038BC: BEFE0124
	v_mov_b32_e32 v6, v32                                      // 0000000038C0: 7E0C0320
	s_mov_b64 s[60:61], 0                                      // 0000000038C4: BEBC0180
	v_readlane_b32 s82, v3, 0                                  // 0000000038C8: D2890052 00010103
	s_and_b32 s82, s82, 0xffffff                               // 0000000038D0: 8652FF52 00FFFFFF
	s_cmp_lt_u32 s82, s66                                      // 0000000038D8: BF0A4252
	s_cselect_b32 s20, s36, s60                                // 0000000038DC: 85143C24
	v_readlane_b32 s82, v3, 1                                  // 0000000038E0: D2890052 00010303
	s_and_b32 s82, s82, 0xffffff                               // 0000000038E8: 8652FF52 00FFFFFF
	s_cmp_lt_u32 s82, s66                                      // 0000000038F0: BF0A4252
	s_cselect_b32 s21, s36, s60                                // 0000000038F4: 85153C24
	s_mov_b64 exec, s[20:21]                                   // 0000000038F8: BEFE0114
	global_atomic_add_f32 v6, v42, s[8:9] offset:8             // 0000000038FC: DD348008 00082A06
	s_mov_b64 exec, s[36:37]                                   // 000000003904: BEFE0124
	v_mov_b32_e32 v6, v33                                      // 000000003908: 7E0C0321
	s_mov_b64 s[60:61], 0                                      // 00000000390C: BEBC0180
	v_readlane_b32 s82, v3, 2                                  // 000000003910: D2890052 00010503
	s_and_b32 s82, s82, 0xffffff                               // 000000003918: 8652FF52 00FFFFFF
	s_cmp_lt_u32 s82, s66                                      // 000000003920: BF0A4252
	s_cselect_b32 s20, s36, s60                                // 000000003924: 85143C24
	v_readlane_b32 s82, v3, 3                                  // 000000003928: D2890052 00010703
	s_and_b32 s82, s82, 0xffffff                               // 000000003930: 8652FF52 00FFFFFF
	s_cmp_lt_u32 s82, s66                                      // 000000003938: BF0A4252
	s_cselect_b32 s21, s36, s60                                // 00000000393C: 85153C24
	s_mov_b64 exec, s[20:21]                                   // 000000003940: BEFE0114
	global_atomic_add_f32 v6, v43, s[8:9] offset:8             // 000000003944: DD348008 00082B06
	s_mov_b64 exec, s[36:37]                                   // 00000000394C: BEFE0124
	s_branch label_0644                                        // 000000003950: BF82026C

0000000000003954 <label_03D8>:
	s_waitcnt vmcnt(0) lgkmcnt(0)                              // 000000003954: BF8C0070
	s_barrier                                                  // 000000003958: BF8A0000
	v_mfma_f32_16x16x32_fp8_fp8 v[36:39], a[16:17], a[0:1], v[36:39]// 00000000395C: D3F30024 1C920110
	buffer_load_dwordx4 a[24:27], v34, s[84:87], 0 offen       // 000000003964: E05C1000 80951822
	v_mfma_f32_16x16x32_fp8_fp8 v[36:39], a[18:19], a[2:3], v[36:39]// 00000000396C: D3F30024 1C920512
	s_add_u32 s60, 0x80, s80                                   // 000000003974: 803C50FF 00000080
	s_cmp_lt_u32 s60, s81                                      // 00000000397C: BF0A513C
	s_cselect_b32 s83, s83, 0                                  // 000000003980: 85538053
	v_mfma_f32_16x16x32_fp8_fp8 v[36:39], a[20:21], a[4:5], v[36:39]// 000000003984: D3F30024 1C920914
	v_mfma_f32_16x16x32_fp8_fp8 v[36:39], a[22:23], a[6:7], v[36:39]// 00000000398C: D3F30024 1C920D16
	buffer_load_dwordx4 a[28:31], v34, s[84:87], 0 offen offset:1024// 000000003994: E05C1400 80951C22
	buffer_load_dword v32, s[20:23], 0 offen lds               // 00000000399C: E0511000 80050020
	s_add_u32 m0, 0x100, s48                                   // 0000000039A4: 807C30FF 00000100
	buffer_load_dword v33, s[20:23], 0 offen lds               // 0000000039AC: E0511000 80050021
	s_add_u32 m0, 0, s49                                       // 0000000039B4: 807C3180
	s_waitcnt vmcnt(2)                                         // 0000000039B8: BF8C0F72
	v_mfma_f32_16x16x32_fp8_fp8 v[40:43], a[24:25], a[0:1], v[40:43]// 0000000039BC: D3F30028 1CA20118
	buffer_load_dwordx4 a[16:19], v34, s[24:27], 0 offen       // 0000000039C4: E05C1000 80861022
	v_mfma_f32_16x16x32_fp8_fp8 v[40:43], a[26:27], a[2:3], v[40:43]// 0000000039CC: D3F30028 1CA2051A
	v_mfma_f32_16x16x32_fp8_fp8 v[40:43], a[28:29], a[4:5], v[40:43]// 0000000039D4: D3F30028 1CA2091C
	ds_read_b128 a[8:11], v2 offset:2176                       // 0000000039DC: DBFE0880 08000002
	ds_read_b128 a[12:15], v2 offset:2240                      // 0000000039E4: DBFE08C0 0C000002
	s_add_u32 s84, s83, s84                                    // 0000000039EC: 80545453
	s_addc_u32 s85, 0, s85                                     // 0000000039F0: 82555580
	v_mfma_f32_16x16x32_fp8_fp8 v[40:43], a[30:31], a[6:7], v[40:43]// 0000000039F4: D3F30028 1CA20D1E
	buffer_load_dwordx4 a[20:23], v34, s[24:27], 0 offen offset:1024// 0000000039FC: E05C1400 80861422
	s_add_u32 s60, 0x180, s80                                  // 000000003A04: 803C50FF 00000180
	s_cmp_lt_u32 s60, s81                                      // 000000003A0C: BF0A513C
	s_cselect_b32 s57, s57, 0                                  // 000000003A10: 85398039
	s_add_u32 s60, 0x100, s80                                  // 000000003A14: 803C50FF 00000100
	s_cmp_lt_u32 s60, s81                                      // 000000003A1C: BF0A513C
	s_cselect_b32 s58, s58, 0                                  // 000000003A20: 853A803A
	s_add_u32 s20, s57, s20                                    // 000000003A24: 80141439
	s_addc_u32 s21, 0, s21                                     // 000000003A28: 82151580
	s_add_u32 s24, s58, s24                                    // 000000003A2C: 8018183A
	s_addc_u32 s25, 0, s25                                     // 000000003A30: 82191980
	s_addk_i32 s80, 0x80                                       // 000000003A34: B7500080
	s_cmp_lt_i32 s80, s81                                      // 000000003A38: BF045150
	s_cbranch_scc0 label_044F                                  // 000000003A3C: BF84003C
	s_waitcnt vmcnt(0) lgkmcnt(0)                              // 000000003A40: BF8C0070
	s_barrier                                                  // 000000003A44: BF8A0000
	v_mfma_f32_16x16x32_fp8_fp8 v[36:39], a[16:17], a[8:9], v[36:39]// 000000003A48: D3F30024 1C921110
	buffer_load_dwordx4 a[24:27], v34, s[84:87], 0 offen       // 000000003A50: E05C1000 80951822
	v_mfma_f32_16x16x32_fp8_fp8 v[36:39], a[18:19], a[10:11], v[36:39]// 000000003A58: D3F30024 1C921512
	s_add_u32 s60, 0x80, s80                                   // 000000003A60: 803C50FF 00000080
	s_cmp_lt_u32 s60, s81                                      // 000000003A68: BF0A513C
	s_cselect_b32 s83, s83, 0                                  // 000000003A6C: 85538053
	v_mfma_f32_16x16x32_fp8_fp8 v[36:39], a[20:21], a[12:13], v[36:39]// 000000003A70: D3F30024 1C921914
	v_mfma_f32_16x16x32_fp8_fp8 v[36:39], a[22:23], a[14:15], v[36:39]// 000000003A78: D3F30024 1C921D16
	buffer_load_dwordx4 a[28:31], v34, s[84:87], 0 offen offset:1024// 000000003A80: E05C1400 80951C22
	buffer_load_dword v32, s[20:23], 0 offen lds               // 000000003A88: E0511000 80050020
	s_add_u32 m0, 0x100, s49                                   // 000000003A90: 807C31FF 00000100
	buffer_load_dword v33, s[20:23], 0 offen lds               // 000000003A98: E0511000 80050021
	s_add_u32 m0, 0, s48                                       // 000000003AA0: 807C3080
	s_waitcnt vmcnt(2)                                         // 000000003AA4: BF8C0F72
	v_mfma_f32_16x16x32_fp8_fp8 v[40:43], a[24:25], a[8:9], v[40:43]// 000000003AA8: D3F30028 1CA21118
	buffer_load_dwordx4 a[16:19], v34, s[24:27], 0 offen       // 000000003AB0: E05C1000 80861022
	v_mfma_f32_16x16x32_fp8_fp8 v[40:43], a[26:27], a[10:11], v[40:43]// 000000003AB8: D3F30028 1CA2151A
	v_mfma_f32_16x16x32_fp8_fp8 v[40:43], a[28:29], a[12:13], v[40:43]// 000000003AC0: D3F30028 1CA2191C
	ds_read_b128 a[0:3], v2                                    // 000000003AC8: DBFE0000 00000002
	ds_read_b128 a[4:7], v2 offset:64                          // 000000003AD0: DBFE0040 04000002
	s_add_u32 s84, s83, s84                                    // 000000003AD8: 80545453
	s_addc_u32 s85, 0, s85                                     // 000000003ADC: 82555580
	v_mfma_f32_16x16x32_fp8_fp8 v[40:43], a[30:31], a[14:15], v[40:43]// 000000003AE0: D3F30028 1CA21D1E
	buffer_load_dwordx4 a[20:23], v34, s[24:27], 0 offen offset:1024// 000000003AE8: E05C1400 80861422
	s_add_u32 s60, 0x180, s80                                  // 000000003AF0: 803C50FF 00000180
	s_cmp_lt_u32 s60, s81                                      // 000000003AF8: BF0A513C
	s_cselect_b32 s57, s57, 0                                  // 000000003AFC: 85398039
	s_add_u32 s60, 0x100, s80                                  // 000000003B00: 803C50FF 00000100
	s_cmp_lt_u32 s60, s81                                      // 000000003B08: BF0A513C
	s_cselect_b32 s58, s58, 0                                  // 000000003B0C: 853A803A
	s_add_u32 s20, s57, s20                                    // 000000003B10: 80141439
	s_addc_u32 s21, 0, s21                                     // 000000003B14: 82151580
	s_add_u32 s24, s58, s24                                    // 000000003B18: 8018183A
	s_addc_u32 s25, 0, s25                                     // 000000003B1C: 82191980
	s_addk_i32 s80, 0x80                                       // 000000003B20: B7500080
	s_cmp_lt_i32 s80, s81                                      // 000000003B24: BF045150
	s_cbranch_scc0 label_044F                                  // 000000003B28: BF840001
	s_branch label_03D8                                        // 000000003B2C: BF82FF89

0000000000003b30 <label_044F>:
	v_mul_f32_dpp v36, v24, v36 row_newbcast:0 row_mask:0xf bank_mask:0xf// 000000003B30: 0A4848FA FF015018
	v_mul_f32_dpp v37, v24, v37 row_newbcast:1 row_mask:0xf bank_mask:0xf// 000000003B38: 0A4A4AFA FF015118
	v_mul_f32_dpp v38, v24, v38 row_newbcast:2 row_mask:0xf bank_mask:0xf// 000000003B40: 0A4C4CFA FF015218
	v_mul_f32_dpp v39, v24, v39 row_newbcast:3 row_mask:0xf bank_mask:0xf// 000000003B48: 0A4E4EFA FF015318
	v_mul_f32_dpp v40, v26, v40 row_newbcast:0 row_mask:0xf bank_mask:0xf// 000000003B50: 0A5050FA FF01501A
	v_mul_f32_dpp v41, v26, v41 row_newbcast:1 row_mask:0xf bank_mask:0xf// 000000003B58: 0A5252FA FF01511A
	v_mul_f32_dpp v42, v26, v42 row_newbcast:2 row_mask:0xf bank_mask:0xf// 000000003B60: 0A5454FA FF01521A
	v_mul_f32_dpp v43, v26, v43 row_newbcast:3 row_mask:0xf bank_mask:0xf// 000000003B68: 0A5656FA FF01531A
	v_mov_b32_e32 v4, v29                                      // 000000003B70: 7E08031D
	v_mov_b32_e32 v5, v4                                       // 000000003B74: 7E0A0304
	v_pk_mul_f32 v[36:37], v[4:5], v[36:37]                    // 000000003B78: D3B14024 18024904
	v_pk_mul_f32 v[40:41], v[4:5], v[40:41]                    // 000000003B80: D3B14028 18025104
	v_pk_mul_f32 v[38:39], v[4:5], v[38:39]                    // 000000003B88: D3B14026 18024D04
	v_pk_mul_f32 v[42:43], v[4:5], v[42:43]                    // 000000003B90: D3B1402A 18025504
	s_cmp_eq_u32 s88, 0                                        // 000000003B98: BF068058
	s_cbranch_scc0 label_0546                                  // 000000003B9C: BF8400DB
	s_cmp_eq_u32 s89, 0                                        // 000000003BA0: BF068059
	s_cbranch_scc1 label_049A                                  // 000000003BA4: BF85002D
	v_mov_b32_e32 v8, v1                                       // 000000003BA8: 7E100301
	v_mov_b32_e32 v9, v1                                       // 000000003BAC: 7E120301
	s_mov_b32 s60, s6                                          // 000000003BB0: BEBC0006
	s_mov_b32 s61, s6                                          // 000000003BB4: BEBD0006
	v_pk_mul_f32 v[4:5], v[36:37], v[36:37]                    // 000000003BB8: D3B14004 18024924
	v_pk_mul_f32 v[6:7], v[38:39], v[38:39]                    // 000000003BC0: D3B14006 18024D26
	v_pk_fma_f32 v[4:5], v[4:5], s[78:79], v[8:9]              // 000000003BC8: D3B04004 1C209D04
	v_pk_fma_f32 v[6:7], v[6:7], s[78:79], v[8:9]              // 000000003BD0: D3B04006 1C209D06
	v_pk_mul_f32 v[4:5], v[4:5], v[36:37]                      // 000000003BD8: D3B14004 18024904
	v_pk_mul_f32 v[6:7], v[6:7], v[38:39]                      // 000000003BE0: D3B14006 18024D06
	v_pk_mul_f32 v[4:5], v[4:5], s[60:61]                      // 000000003BE8: D3B14004 18007904
	v_pk_mul_f32 v[6:7], v[6:7], s[60:61]                      // 000000003BF0: D3B14006 18007906
	v_exp_f32_e32 v4, v4                                       // 000000003BF8: 7E084104
	v_exp_f32_e32 v5, v5                                       // 000000003BFC: 7E0A4105
	v_exp_f32_e32 v6, v6                                       // 000000003C00: 7E0C4106
	v_exp_f32_e32 v7, v7                                       // 000000003C04: 7E0E4107
	v_add_f32_e64 v4, v4, 1.0                                  // 000000003C08: D1010004 0001E504
	v_add_f32_e64 v5, v5, 1.0                                  // 000000003C10: D1010005 0001E505
	v_add_f32_e64 v6, v6, 1.0                                  // 000000003C18: D1010006 0001E506
	v_add_f32_e64 v7, v7, 1.0                                  // 000000003C20: D1010007 0001E507
	v_rcp_f32_e32 v4, v4                                       // 000000003C28: 7E084504
	v_rcp_f32_e32 v5, v5                                       // 000000003C2C: 7E0A4505
	v_rcp_f32_e32 v6, v6                                       // 000000003C30: 7E0C4506
	v_rcp_f32_e32 v7, v7                                       // 000000003C34: 7E0E4507
	v_mul_f32_e32 v36, v36, v4                                 // 000000003C38: 0A480924
	v_mul_f32_e32 v37, v37, v5                                 // 000000003C3C: 0A4A0B25
	v_mul_f32_e32 v38, v38, v6                                 // 000000003C40: 0A4C0D26
	v_mul_f32_e32 v39, v39, v7                                 // 000000003C44: 0A4E0F27
	v_mul_f32_e32 v36, v36, v40                                // 000000003C48: 0A485124
	v_mul_f32_e32 v37, v37, v41                                // 000000003C4C: 0A4A5325
	v_mul_f32_e32 v38, v38, v42                                // 000000003C50: 0A4C5526
	v_mul_f32_e32 v39, v39, v43                                // 000000003C54: 0A4E5727
	s_branch label_04BA                                        // 000000003C58: BF820020

0000000000003c5c <label_049A>:
	v_mul_f32_e64 v4, -v36, s6                                 // 000000003C5C: D1050004 20000D24
	v_mul_f32_e64 v5, -v37, s6                                 // 000000003C64: D1050005 20000D25
	v_mul_f32_e64 v6, -v38, s6                                 // 000000003C6C: D1050006 20000D26
	v_mul_f32_e64 v7, -v39, s6                                 // 000000003C74: D1050007 20000D27
	v_exp_f32_e32 v4, v4                                       // 000000003C7C: 7E084104
	v_exp_f32_e32 v5, v5                                       // 000000003C80: 7E0A4105
	v_exp_f32_e32 v6, v6                                       // 000000003C84: 7E0C4106
	v_exp_f32_e32 v7, v7                                       // 000000003C88: 7E0E4107
	v_add_f32_e64 v4, v4, 1.0                                  // 000000003C8C: D1010004 0001E504
	v_add_f32_e64 v5, v5, 1.0                                  // 000000003C94: D1010005 0001E505
	v_add_f32_e64 v6, v6, 1.0                                  // 000000003C9C: D1010006 0001E506
	v_add_f32_e64 v7, v7, 1.0                                  // 000000003CA4: D1010007 0001E507
	v_rcp_f32_e32 v4, v4                                       // 000000003CAC: 7E084504
	v_rcp_f32_e32 v5, v5                                       // 000000003CB0: 7E0A4505
	v_rcp_f32_e32 v6, v6                                       // 000000003CB4: 7E0C4506
	v_rcp_f32_e32 v7, v7                                       // 000000003CB8: 7E0E4507
	v_mul_f32_e32 v36, v36, v4                                 // 000000003CBC: 0A480924
	v_mul_f32_e32 v37, v37, v5                                 // 000000003CC0: 0A4A0B25
	v_mul_f32_e32 v38, v38, v6                                 // 000000003CC4: 0A4C0D26
	v_mul_f32_e32 v39, v39, v7                                 // 000000003CC8: 0A4E0F27
	v_mul_f32_e32 v36, v36, v40                                // 000000003CCC: 0A485124
	v_mul_f32_e32 v37, v37, v41                                // 000000003CD0: 0A4A5325
	v_mul_f32_e32 v38, v38, v42                                // 000000003CD4: 0A4C5526
	v_mul_f32_e32 v39, v39, v43                                // 000000003CD8: 0A4E5727

0000000000003cdc <label_04BA>:
	v_cmp_u_f32_e64 s[46:47], v36, v36                         // 000000003CDC: D048002E 00024924
	v_add3_u32 v16, v36, v19, 1                                // 000000003CE4: D1FF0010 02062724
	v_cndmask_b32_e64 v4, v16, v18, s[46:47]                   // 000000003CEC: D1000004 00BA2510
	v_cmp_u_f32_e64 s[46:47], v37, v37                         // 000000003CF4: D048002E 00024B25
	v_add3_u32 v16, v37, v19, 1                                // 000000003CFC: D1FF0010 02062725
	v_cndmask_b32_e64 v5, v16, v18, s[46:47]                   // 000000003D04: D1000005 00BA2510
	v_perm_b32 v36, v5, v4, s52                                // 000000003D0C: D1ED0024 00D20905
	v_cmp_u_f32_e64 s[46:47], v38, v38                         // 000000003D14: D048002E 00024D26
	v_add3_u32 v16, v38, v19, 1                                // 000000003D1C: D1FF0010 02062726
	v_cndmask_b32_e64 v4, v16, v18, s[46:47]                   // 000000003D24: D1000004 00BA2510
	v_cmp_u_f32_e64 s[46:47], v39, v39                         // 000000003D2C: D048002E 00024F27
	v_add3_u32 v16, v39, v19, 1                                // 000000003D34: D1FF0010 02062727
	v_cndmask_b32_e64 v5, v16, v18, s[46:47]                   // 000000003D3C: D1000005 00BA2510
	v_perm_b32 v37, v5, v4, s52                                // 000000003D44: D1ED0025 00D20905
	ds_write_b64 v20, v[36:37]                                 // 000000003D4C: D89A0000 00002414
	v_lshrrev_b32_e32 v4, 5, v0                                // 000000003D54: 20080085
	v_xor_b32_e32 v5, 1, v4                                    // 000000003D58: 2A0A0881
	s_mul_i32 s60, s65, 2                                      // 000000003D5C: 923C8241
	s_cmp_eq_u32 s88, 0                                        // 000000003D60: BF068058
	s_cselect_b32 s61, 1, 4                                    // 000000003D64: 853D8481
	s_mul_i32 s60, s61, s60                                    // 000000003D68: 923C3C3D
	v_readlane_b32 s82, v3, 0                                  // 000000003D6C: D2890052 00010103
	s_lshr_b32 s61, s82, 24                                    // 000000003D74: 8F3D9852
	s_and_b32 s82, s82, 0xffffff                               // 000000003D78: 8652FF52 00FFFFFF
	s_mul_i32 s82, s82, s71                                    // 000000003D80: 92524752
	s_mul_i32 s61, s60, s61                                    // 000000003D84: 923D3D3C
	s_add_u32 s82, s82, s61                                    // 000000003D88: 80523D52
	v_mul_lo_u32 v6, v5, s82                                   // 000000003D8C: D2850006 0000A505
	v_readlane_b32 s82, v3, 1                                  // 000000003D94: D2890052 00010303
	s_lshr_b32 s61, s82, 24                                    // 000000003D9C: 8F3D9852
	s_and_b32 s82, s82, 0xffffff                               // 000000003DA0: 8652FF52 00FFFFFF
	s_mul_i32 s82, s82, s71                                    // 000000003DA8: 92524752
	s_mul_i32 s61, s60, s61                                    // 000000003DAC: 923D3D3C
	s_add_u32 s82, s82, s61                                    // 000000003DB0: 80523D52
	v_mul_lo_u32 v7, v4, s82                                   // 000000003DB4: D2850007 0000A504
	v_add_u32_e32 v32, v6, v7                                  // 000000003DBC: 68400F06
	v_readlane_b32 s82, v3, 2                                  // 000000003DC0: D2890052 00010503
	s_lshr_b32 s61, s82, 24                                    // 000000003DC8: 8F3D9852
	s_and_b32 s82, s82, 0xffffff                               // 000000003DCC: 8652FF52 00FFFFFF
	s_mul_i32 s82, s82, s71                                    // 000000003DD4: 92524752
	s_mul_i32 s61, s60, s61                                    // 000000003DD8: 923D3D3C
	s_add_u32 s82, s82, s61                                    // 000000003DDC: 80523D52
	v_mul_lo_u32 v6, v5, s82                                   // 000000003DE0: D2850006 0000A505
	v_readlane_b32 s82, v3, 3                                  // 000000003DE8: D2890052 00010703
	s_lshr_b32 s61, s82, 24                                    // 000000003DF0: 8F3D9852
	s_and_b32 s82, s82, 0xffffff                               // 000000003DF4: 8652FF52 00FFFFFF
	s_mul_i32 s82, s82, s71                                    // 000000003DFC: 92524752
	s_mul_i32 s61, s60, s61                                    // 000000003E00: 923D3D3C
	s_add_u32 s82, s82, s61                                    // 000000003E04: 80523D52
	v_mul_lo_u32 v7, v4, s82                                   // 000000003E08: D2850007 0000A504
	v_add_u32_e32 v33, v6, v7                                  // 000000003E10: 68420F06
	v_and_b32_e32 v4, 31, v0                                   // 000000003E14: 2608009F
	v_lshrrev_b32_e32 v4, 1, v4                                // 000000003E18: 20080881
	s_cmp_eq_u32 s88, 0                                        // 000000003E1C: BF068058
	s_cselect_b32 s61, 2, 4                                    // 000000003E20: 853D8482
	v_mul_lo_u32 v4, v4, s61                                   // 000000003E24: D2850004 00007B04
	v_and_b32_e64 v5, v0, 1                                    // 000000003E2C: D1130005 00010300
	v_add_u32_e32 v4, v4, v5                                   // 000000003E34: 68080B04
	v_lshlrev_b32_e32 v4, 2, v4                                // 000000003E38: 24080882
	v_add_u32_e32 v32, v32, v4                                 // 000000003E3C: 68400920
	v_add_u32_e32 v33, v33, v4                                 // 000000003E40: 68420921
	s_waitcnt lgkmcnt(0)                                       // 000000003E44: BF8CC07F
	s_barrier                                                  // 000000003E48: BF8A0000
	ds_read_b32 v36, v21                                       // 000000003E4C: D86C0000 24000015
	ds_read_b32 v37, v21 offset:64                             // 000000003E54: D86C0040 25000015
	s_waitcnt lgkmcnt(0)                                       // 000000003E5C: BF8CC07F
	s_mov_b32 s36, -1                                          // 000000003E60: BEA400C1
	s_mov_b32 s37, -1                                          // 000000003E64: BEA500C1
	v_mov_b32_e32 v7, 0                                        // 000000003E68: 7E0E0280
	s_or_b32 s9, s9, 0x40000                                   // 000000003E6C: 8709FF09 00040000
	s_mov_b64 exec, s[36:37]                                   // 000000003E74: BEFE0124
	v_mov_b32_e32 v6, v32                                      // 000000003E78: 7E0C0320
	s_mov_b64 s[60:61], 0                                      // 000000003E7C: BEBC0180
	v_readlane_b32 s82, v3, 0                                  // 000000003E80: D2890052 00010103
	s_and_b32 s82, s82, 0xffffff                               // 000000003E88: 8652FF52 00FFFFFF
	s_cmp_lt_u32 s82, s66                                      // 000000003E90: BF0A4252
	s_cselect_b32 s20, s36, s60                                // 000000003E94: 85143C24
	v_readlane_b32 s82, v3, 1                                  // 000000003E98: D2890052 00010303
	s_and_b32 s82, s82, 0xffffff                               // 000000003EA0: 8652FF52 00FFFFFF
	s_cmp_lt_u32 s82, s66                                      // 000000003EA8: BF0A4252
	s_cselect_b32 s21, s36, s60                                // 000000003EAC: 85153C24
	s_mov_b64 exec, s[20:21]                                   // 000000003EB0: BEFE0114
	buffer_store_dword v36, v6, s[8:11], 0 offen               // 000000003EB4: E0701000 80022406
	s_mov_b64 exec, s[36:37]                                   // 000000003EBC: BEFE0124
	v_mov_b32_e32 v6, v33                                      // 000000003EC0: 7E0C0321
	s_mov_b64 s[60:61], 0                                      // 000000003EC4: BEBC0180
	v_readlane_b32 s82, v3, 2                                  // 000000003EC8: D2890052 00010503
	s_and_b32 s82, s82, 0xffffff                               // 000000003ED0: 8652FF52 00FFFFFF
	s_cmp_lt_u32 s82, s66                                      // 000000003ED8: BF0A4252
	s_cselect_b32 s20, s36, s60                                // 000000003EDC: 85143C24
	v_readlane_b32 s82, v3, 3                                  // 000000003EE0: D2890052 00010703
	s_and_b32 s82, s82, 0xffffff                               // 000000003EE8: 8652FF52 00FFFFFF
	s_cmp_lt_u32 s82, s66                                      // 000000003EF0: BF0A4252
	s_cselect_b32 s21, s36, s60                                // 000000003EF4: 85153C24
	s_mov_b64 exec, s[20:21]                                   // 000000003EF8: BEFE0114
	buffer_store_dword v37, v6, s[8:11], 0 offen               // 000000003EFC: E0701000 80022506
	s_mov_b64 exec, s[36:37]                                   // 000000003F04: BEFE0124
	s_branch label_0644                                        // 000000003F08: BF8200FE

0000000000003f0c <label_0546>:
	ds_write_b64 v20, v[36:37]                                 // 000000003F0C: D89A0000 00002414
	v_lshrrev_b32_e32 v4, 5, v0                                // 000000003F14: 20080085
	v_xor_b32_e32 v5, 1, v4                                    // 000000003F18: 2A0A0881
	s_mul_i32 s60, s65, 2                                      // 000000003F1C: 923C8241
	s_cmp_eq_u32 s88, 0                                        // 000000003F20: BF068058
	s_cselect_b32 s61, 1, 4                                    // 000000003F24: 853D8481
	s_mul_i32 s60, s61, s60                                    // 000000003F28: 923C3C3D
	v_readlane_b32 s82, v3, 0                                  // 000000003F2C: D2890052 00010103
	s_lshr_b32 s61, s82, 24                                    // 000000003F34: 8F3D9852
	s_and_b32 s82, s82, 0xffffff                               // 000000003F38: 8652FF52 00FFFFFF
	s_mul_i32 s82, s82, s71                                    // 000000003F40: 92524752
	s_mul_i32 s61, s60, s61                                    // 000000003F44: 923D3D3C
	s_add_u32 s82, s82, s61                                    // 000000003F48: 80523D52
	v_mul_lo_u32 v6, v5, s82                                   // 000000003F4C: D2850006 0000A505
	v_readlane_b32 s82, v3, 1                                  // 000000003F54: D2890052 00010303
	s_lshr_b32 s61, s82, 24                                    // 000000003F5C: 8F3D9852
	s_and_b32 s82, s82, 0xffffff                               // 000000003F60: 8652FF52 00FFFFFF
	s_mul_i32 s82, s82, s71                                    // 000000003F68: 92524752
	s_mul_i32 s61, s60, s61                                    // 000000003F6C: 923D3D3C
	s_add_u32 s82, s82, s61                                    // 000000003F70: 80523D52
	v_mul_lo_u32 v7, v4, s82                                   // 000000003F74: D2850007 0000A504
	v_add_u32_e32 v32, v6, v7                                  // 000000003F7C: 68400F06
	v_readlane_b32 s82, v3, 2                                  // 000000003F80: D2890052 00010503
	s_lshr_b32 s61, s82, 24                                    // 000000003F88: 8F3D9852
	s_and_b32 s82, s82, 0xffffff                               // 000000003F8C: 8652FF52 00FFFFFF
	s_mul_i32 s82, s82, s71                                    // 000000003F94: 92524752
	s_mul_i32 s61, s60, s61                                    // 000000003F98: 923D3D3C
	s_add_u32 s82, s82, s61                                    // 000000003F9C: 80523D52
	v_mul_lo_u32 v6, v5, s82                                   // 000000003FA0: D2850006 0000A505
	v_readlane_b32 s82, v3, 3                                  // 000000003FA8: D2890052 00010703
	s_lshr_b32 s61, s82, 24                                    // 000000003FB0: 8F3D9852
	s_and_b32 s82, s82, 0xffffff                               // 000000003FB4: 8652FF52 00FFFFFF
	s_mul_i32 s82, s82, s71                                    // 000000003FBC: 92524752
	s_mul_i32 s61, s60, s61                                    // 000000003FC0: 923D3D3C
	s_add_u32 s82, s82, s61                                    // 000000003FC4: 80523D52
	v_mul_lo_u32 v7, v4, s82                                   // 000000003FC8: D2850007 0000A504
	v_add_u32_e32 v33, v6, v7                                  // 000000003FD0: 68420F06
	v_and_b32_e32 v4, 31, v0                                   // 000000003FD4: 2608009F
	v_lshrrev_b32_e32 v4, 1, v4                                // 000000003FD8: 20080881
	s_cmp_eq_u32 s88, 0                                        // 000000003FDC: BF068058
	s_cselect_b32 s61, 2, 4                                    // 000000003FE0: 853D8482
	v_mul_lo_u32 v4, v4, s61                                   // 000000003FE4: D2850004 00007B04
	v_and_b32_e64 v5, v0, 1                                    // 000000003FEC: D1130005 00010300
	v_add_u32_e32 v4, v4, v5                                   // 000000003FF4: 68080B04
	v_lshlrev_b32_e32 v4, 2, v4                                // 000000003FF8: 24080882
	v_add_u32_e32 v32, v32, v4                                 // 000000003FFC: 68400920
	v_add_u32_e32 v33, v33, v4                                 // 000000004000: 68420921
	s_waitcnt lgkmcnt(0)                                       // 000000004004: BF8CC07F
	s_barrier                                                  // 000000004008: BF8A0000
	ds_read_b32 v36, v21                                       // 00000000400C: D86C0000 24000015
	ds_read_b32 v37, v21 offset:64                             // 000000004014: D86C0040 25000015
	s_waitcnt lgkmcnt(0)                                       // 00000000401C: BF8CC07F
	s_mov_b32 s36, -1                                          // 000000004020: BEA400C1
	s_mov_b32 s37, -1                                          // 000000004024: BEA500C1
	v_mov_b32_e32 v7, 0                                        // 000000004028: 7E0E0280
	s_mov_b64 exec, s[36:37]                                   // 00000000402C: BEFE0124
	v_mov_b32_e32 v6, v32                                      // 000000004030: 7E0C0320
	s_mov_b64 s[60:61], 0                                      // 000000004034: BEBC0180
	v_readlane_b32 s82, v3, 0                                  // 000000004038: D2890052 00010103
	s_and_b32 s82, s82, 0xffffff                               // 000000004040: 8652FF52 00FFFFFF
	s_cmp_lt_u32 s82, s66                                      // 000000004048: BF0A4252
	s_cselect_b32 s20, s36, s60                                // 00000000404C: 85143C24
	v_readlane_b32 s82, v3, 1                                  // 000000004050: D2890052 00010303
	s_and_b32 s82, s82, 0xffffff                               // 000000004058: 8652FF52 00FFFFFF
	s_cmp_lt_u32 s82, s66                                      // 000000004060: BF0A4252
	s_cselect_b32 s21, s36, s60                                // 000000004064: 85153C24
	s_mov_b64 exec, s[20:21]                                   // 000000004068: BEFE0114
	global_atomic_add_f32 v6, v36, s[8:9]                      // 00000000406C: DD348000 00082406
	s_mov_b64 exec, s[36:37]                                   // 000000004074: BEFE0124
	v_mov_b32_e32 v6, v33                                      // 000000004078: 7E0C0321
	s_mov_b64 s[60:61], 0                                      // 00000000407C: BEBC0180
	v_readlane_b32 s82, v3, 2                                  // 000000004080: D2890052 00010503
	s_and_b32 s82, s82, 0xffffff                               // 000000004088: 8652FF52 00FFFFFF
	s_cmp_lt_u32 s82, s66                                      // 000000004090: BF0A4252
	s_cselect_b32 s20, s36, s60                                // 000000004094: 85143C24
	v_readlane_b32 s82, v3, 3                                  // 000000004098: D2890052 00010703
	s_and_b32 s82, s82, 0xffffff                               // 0000000040A0: 8652FF52 00FFFFFF
	s_cmp_lt_u32 s82, s66                                      // 0000000040A8: BF0A4252
	s_cselect_b32 s21, s36, s60                                // 0000000040AC: 85153C24
	s_mov_b64 exec, s[20:21]                                   // 0000000040B0: BEFE0114
	global_atomic_add_f32 v6, v37, s[8:9]                      // 0000000040B4: DD348000 00082506
	s_mov_b64 exec, s[36:37]                                   // 0000000040BC: BEFE0124
	ds_write_b64 v20, v[38:39]                                 // 0000000040C0: D89A0000 00002614
	s_waitcnt lgkmcnt(0)                                       // 0000000040C8: BF8CC07F
	s_barrier                                                  // 0000000040CC: BF8A0000
	ds_read_b32 v38, v21                                       // 0000000040D0: D86C0000 26000015
	ds_read_b32 v39, v21 offset:64                             // 0000000040D8: D86C0040 27000015
	s_waitcnt lgkmcnt(0)                                       // 0000000040E0: BF8CC07F
	v_mov_b32_e32 v7, 0                                        // 0000000040E4: 7E0E0280
	s_mov_b64 exec, s[36:37]                                   // 0000000040E8: BEFE0124
	v_mov_b32_e32 v6, v32                                      // 0000000040EC: 7E0C0320
	s_mov_b64 s[60:61], 0                                      // 0000000040F0: BEBC0180
	v_readlane_b32 s82, v3, 0                                  // 0000000040F4: D2890052 00010103
	s_and_b32 s82, s82, 0xffffff                               // 0000000040FC: 8652FF52 00FFFFFF
	s_cmp_lt_u32 s82, s66                                      // 000000004104: BF0A4252
	s_cselect_b32 s20, s36, s60                                // 000000004108: 85143C24
	v_readlane_b32 s82, v3, 1                                  // 00000000410C: D2890052 00010303
	s_and_b32 s82, s82, 0xffffff                               // 000000004114: 8652FF52 00FFFFFF
	s_cmp_lt_u32 s82, s66                                      // 00000000411C: BF0A4252
	s_cselect_b32 s21, s36, s60                                // 000000004120: 85153C24
	s_mov_b64 exec, s[20:21]                                   // 000000004124: BEFE0114
	global_atomic_add_f32 v6, v38, s[8:9] offset:8             // 000000004128: DD348008 00082606
	s_mov_b64 exec, s[36:37]                                   // 000000004130: BEFE0124
	v_mov_b32_e32 v6, v33                                      // 000000004134: 7E0C0321
	s_mov_b64 s[60:61], 0                                      // 000000004138: BEBC0180
	v_readlane_b32 s82, v3, 2                                  // 00000000413C: D2890052 00010503
	s_and_b32 s82, s82, 0xffffff                               // 000000004144: 8652FF52 00FFFFFF
	s_cmp_lt_u32 s82, s66                                      // 00000000414C: BF0A4252
	s_cselect_b32 s20, s36, s60                                // 000000004150: 85143C24
	v_readlane_b32 s82, v3, 3                                  // 000000004154: D2890052 00010703
	s_and_b32 s82, s82, 0xffffff                               // 00000000415C: 8652FF52 00FFFFFF
	s_cmp_lt_u32 s82, s66                                      // 000000004164: BF0A4252
	s_cselect_b32 s21, s36, s60                                // 000000004168: 85153C24
	s_mov_b64 exec, s[20:21]                                   // 00000000416C: BEFE0114
	global_atomic_add_f32 v6, v39, s[8:9] offset:8             // 000000004170: DD348008 00082706
	s_mov_b64 exec, s[36:37]                                   // 000000004178: BEFE0124
	ds_write_b64 v20, v[40:41]                                 // 00000000417C: D89A0000 00002814
	s_waitcnt lgkmcnt(0)                                       // 000000004184: BF8CC07F
	s_barrier                                                  // 000000004188: BF8A0000
	ds_read_b32 v40, v21                                       // 00000000418C: D86C0000 28000015
	ds_read_b32 v41, v21 offset:64                             // 000000004194: D86C0040 29000015
	s_mul_i32 s60, s65, 4                                      // 00000000419C: 923C8441
	s_add_u32 s8, s60, s8                                      // 0000000041A0: 8008083C
	s_addc_u32 s9, 0, s9                                       // 0000000041A4: 82090980
	s_waitcnt lgkmcnt(0)                                       // 0000000041A8: BF8CC07F
	v_mov_b32_e32 v7, 0                                        // 0000000041AC: 7E0E0280
	s_mov_b64 exec, s[36:37]                                   // 0000000041B0: BEFE0124
	v_mov_b32_e32 v6, v32                                      // 0000000041B4: 7E0C0320
	s_mov_b64 s[60:61], 0                                      // 0000000041B8: BEBC0180
	v_readlane_b32 s82, v3, 0                                  // 0000000041BC: D2890052 00010103
	s_and_b32 s82, s82, 0xffffff                               // 0000000041C4: 8652FF52 00FFFFFF
	s_cmp_lt_u32 s82, s66                                      // 0000000041CC: BF0A4252
	s_cselect_b32 s20, s36, s60                                // 0000000041D0: 85143C24
	v_readlane_b32 s82, v3, 1                                  // 0000000041D4: D2890052 00010303
	s_and_b32 s82, s82, 0xffffff                               // 0000000041DC: 8652FF52 00FFFFFF
	s_cmp_lt_u32 s82, s66                                      // 0000000041E4: BF0A4252
	s_cselect_b32 s21, s36, s60                                // 0000000041E8: 85153C24
	s_mov_b64 exec, s[20:21]                                   // 0000000041EC: BEFE0114
	global_atomic_add_f32 v6, v40, s[8:9]                      // 0000000041F0: DD348000 00082806
	s_mov_b64 exec, s[36:37]                                   // 0000000041F8: BEFE0124
	v_mov_b32_e32 v6, v33                                      // 0000000041FC: 7E0C0321
	s_mov_b64 s[60:61], 0                                      // 000000004200: BEBC0180
	v_readlane_b32 s82, v3, 2                                  // 000000004204: D2890052 00010503
	s_and_b32 s82, s82, 0xffffff                               // 00000000420C: 8652FF52 00FFFFFF
	s_cmp_lt_u32 s82, s66                                      // 000000004214: BF0A4252
	s_cselect_b32 s20, s36, s60                                // 000000004218: 85143C24
	v_readlane_b32 s82, v3, 3                                  // 00000000421C: D2890052 00010703
	s_and_b32 s82, s82, 0xffffff                               // 000000004224: 8652FF52 00FFFFFF
	s_cmp_lt_u32 s82, s66                                      // 00000000422C: BF0A4252
	s_cselect_b32 s21, s36, s60                                // 000000004230: 85153C24
	s_mov_b64 exec, s[20:21]                                   // 000000004234: BEFE0114
	global_atomic_add_f32 v6, v41, s[8:9]                      // 000000004238: DD348000 00082906
	s_mov_b64 exec, s[36:37]                                   // 000000004240: BEFE0124
	ds_write_b64 v20, v[42:43]                                 // 000000004244: D89A0000 00002A14
	s_waitcnt lgkmcnt(0)                                       // 00000000424C: BF8CC07F
	s_barrier                                                  // 000000004250: BF8A0000
	ds_read_b32 v42, v21                                       // 000000004254: D86C0000 2A000015
	ds_read_b32 v43, v21 offset:64                             // 00000000425C: D86C0040 2B000015
	s_waitcnt lgkmcnt(0)                                       // 000000004264: BF8CC07F
	v_mov_b32_e32 v7, 0                                        // 000000004268: 7E0E0280
	s_mov_b64 exec, s[36:37]                                   // 00000000426C: BEFE0124
	v_mov_b32_e32 v6, v32                                      // 000000004270: 7E0C0320
	s_mov_b64 s[60:61], 0                                      // 000000004274: BEBC0180
	v_readlane_b32 s82, v3, 0                                  // 000000004278: D2890052 00010103
	s_and_b32 s82, s82, 0xffffff                               // 000000004280: 8652FF52 00FFFFFF
	s_cmp_lt_u32 s82, s66                                      // 000000004288: BF0A4252
	s_cselect_b32 s20, s36, s60                                // 00000000428C: 85143C24
	v_readlane_b32 s82, v3, 1                                  // 000000004290: D2890052 00010303
	s_and_b32 s82, s82, 0xffffff                               // 000000004298: 8652FF52 00FFFFFF
	s_cmp_lt_u32 s82, s66                                      // 0000000042A0: BF0A4252
	s_cselect_b32 s21, s36, s60                                // 0000000042A4: 85153C24
	s_mov_b64 exec, s[20:21]                                   // 0000000042A8: BEFE0114
	global_atomic_add_f32 v6, v42, s[8:9] offset:8             // 0000000042AC: DD348008 00082A06
	s_mov_b64 exec, s[36:37]                                   // 0000000042B4: BEFE0124
	v_mov_b32_e32 v6, v33                                      // 0000000042B8: 7E0C0321
	s_mov_b64 s[60:61], 0                                      // 0000000042BC: BEBC0180
	v_readlane_b32 s82, v3, 2                                  // 0000000042C0: D2890052 00010503
	s_and_b32 s82, s82, 0xffffff                               // 0000000042C8: 8652FF52 00FFFFFF
	s_cmp_lt_u32 s82, s66                                      // 0000000042D0: BF0A4252
	s_cselect_b32 s20, s36, s60                                // 0000000042D4: 85143C24
	v_readlane_b32 s82, v3, 3                                  // 0000000042D8: D2890052 00010703
	s_and_b32 s82, s82, 0xffffff                               // 0000000042E0: 8652FF52 00FFFFFF
	s_cmp_lt_u32 s82, s66                                      // 0000000042E8: BF0A4252
	s_cselect_b32 s21, s36, s60                                // 0000000042EC: 85153C24
	s_mov_b64 exec, s[20:21]                                   // 0000000042F0: BEFE0114
	global_atomic_add_f32 v6, v43, s[8:9] offset:8             // 0000000042F4: DD348008 00082B06
	s_mov_b64 exec, s[36:37]                                   // 0000000042FC: BEFE0124
	s_branch label_0644                                        // 000000004300: BF820000

0000000000004304 <label_0644>:
	s_waitcnt vmcnt(0) expcnt(0) lgkmcnt(0)                    // 000000004304: BF8C0000
	s_endpgm                                                   // 000000004308: BF810000
